;; amdgpu-corpus repo=ROCm/rocFFT kind=compiled arch=gfx1100 opt=O3
	.text
	.amdgcn_target "amdgcn-amd-amdhsa--gfx1100"
	.amdhsa_code_object_version 6
	.protected	fft_rtc_fwd_len208_factors_13_16_wgs_144_tpt_16_dp_ip_CI_sbcc_twdbase8_2step ; -- Begin function fft_rtc_fwd_len208_factors_13_16_wgs_144_tpt_16_dp_ip_CI_sbcc_twdbase8_2step
	.globl	fft_rtc_fwd_len208_factors_13_16_wgs_144_tpt_16_dp_ip_CI_sbcc_twdbase8_2step
	.p2align	8
	.type	fft_rtc_fwd_len208_factors_13_16_wgs_144_tpt_16_dp_ip_CI_sbcc_twdbase8_2step,@function
fft_rtc_fwd_len208_factors_13_16_wgs_144_tpt_16_dp_ip_CI_sbcc_twdbase8_2step: ; @fft_rtc_fwd_len208_factors_13_16_wgs_144_tpt_16_dp_ip_CI_sbcc_twdbase8_2step
; %bb.0:
	s_mov_b32 s2, s15
	s_load_b128 s[12:15], s[0:1], 0x18
	s_mov_b64 s[22:23], 0
	s_waitcnt lgkmcnt(0)
	s_load_b64 s[18:19], s[12:13], 0x8
	s_waitcnt lgkmcnt(0)
	s_add_u32 s3, s18, -1
	s_addc_u32 s4, s19, -1
	s_add_u32 s5, 0, 0x71c4fc00
	s_addc_u32 s6, 0, 0x7c
	s_mul_hi_u32 s8, s5, -9
	s_add_i32 s6, s6, 0x1c71c6a0
	s_sub_i32 s8, s8, s5
	s_mul_i32 s10, s6, -9
	s_mul_i32 s7, s5, -9
	s_add_i32 s8, s8, s10
	s_mul_hi_u32 s9, s5, s7
	s_mul_i32 s16, s5, s8
	s_mul_hi_u32 s10, s5, s8
	s_mul_hi_u32 s11, s6, s7
	s_mul_i32 s7, s6, s7
	s_add_u32 s9, s9, s16
	s_addc_u32 s10, 0, s10
	s_mul_hi_u32 s17, s6, s8
	s_add_u32 s7, s9, s7
	s_mul_i32 s8, s6, s8
	s_addc_u32 s7, s10, s11
	s_addc_u32 s9, s17, 0
	s_add_u32 s7, s7, s8
	s_delay_alu instid0(SALU_CYCLE_1) | instskip(SKIP_3) | instid1(VALU_DEP_1)
	v_add_co_u32 v1, s5, s5, s7
	s_addc_u32 s7, 0, s9
	s_cmp_lg_u32 s5, 0
	s_addc_u32 s5, s6, s7
	v_readfirstlane_b32 s6, v1
	s_mul_i32 s8, s3, s5
	s_mul_hi_u32 s7, s3, s5
	s_mul_hi_u32 s9, s4, s5
	s_mul_i32 s5, s4, s5
	s_mul_hi_u32 s10, s3, s6
	s_mul_hi_u32 s11, s4, s6
	s_mul_i32 s6, s4, s6
	s_add_u32 s8, s10, s8
	s_addc_u32 s7, 0, s7
	s_add_u32 s6, s8, s6
	s_addc_u32 s6, s7, s11
	s_addc_u32 s7, s9, 0
	s_add_u32 s5, s6, s5
	s_addc_u32 s6, 0, s7
	s_mul_i32 s8, s5, 9
	s_add_u32 s7, s5, 1
	v_sub_co_u32 v1, s3, s3, s8
	s_mul_hi_u32 s8, s5, 9
	s_addc_u32 s9, s6, 0
	s_mul_i32 s10, s6, 9
	s_delay_alu instid0(VALU_DEP_1)
	v_sub_co_u32 v2, s11, v1, 9
	s_add_u32 s16, s5, 2
	s_addc_u32 s17, s6, 0
	s_add_i32 s8, s8, s10
	s_cmp_lg_u32 s3, 0
	v_readfirstlane_b32 s3, v2
	s_subb_u32 s4, s4, s8
	s_cmp_lg_u32 s11, 0
	s_subb_u32 s8, s4, 0
	s_delay_alu instid0(VALU_DEP_1) | instskip(SKIP_4) | instid1(SALU_CYCLE_1)
	s_cmp_gt_u32 s3, 8
	s_cselect_b32 s3, -1, 0
	s_cmp_eq_u32 s8, 0
	v_readfirstlane_b32 s8, v1
	s_cselect_b32 s3, s3, -1
	s_cmp_lg_u32 s3, 0
	s_cselect_b32 s7, s16, s7
	s_cselect_b32 s9, s17, s9
	s_cmp_gt_u32 s8, 8
	s_cselect_b32 s3, -1, 0
	s_cmp_eq_u32 s4, 0
	s_cselect_b32 s3, s3, -1
	s_delay_alu instid0(SALU_CYCLE_1)
	s_cmp_lg_u32 s3, 0
	s_mov_b32 s3, 0
	s_cselect_b32 s4, s7, s5
	s_cselect_b32 s5, s9, s6
	s_add_u32 s20, s4, 1
	s_addc_u32 s21, s5, 0
	s_delay_alu instid0(SALU_CYCLE_1) | instskip(NEXT) | instid1(VALU_DEP_1)
	v_cmp_lt_u64_e64 s4, s[2:3], s[20:21]
	s_and_b32 vcc_lo, exec_lo, s4
	s_cbranch_vccnz .LBB0_2
; %bb.1:
	v_cvt_f32_u32_e32 v1, s20
	s_sub_i32 s5, 0, s20
	s_mov_b32 s23, s3
	s_delay_alu instid0(VALU_DEP_1) | instskip(SKIP_2) | instid1(VALU_DEP_1)
	v_rcp_iflag_f32_e32 v1, v1
	s_waitcnt_depctr 0xfff
	v_mul_f32_e32 v1, 0x4f7ffffe, v1
	v_cvt_u32_f32_e32 v1, v1
	s_delay_alu instid0(VALU_DEP_1) | instskip(NEXT) | instid1(VALU_DEP_1)
	v_readfirstlane_b32 s4, v1
	s_mul_i32 s5, s5, s4
	s_delay_alu instid0(SALU_CYCLE_1) | instskip(NEXT) | instid1(SALU_CYCLE_1)
	s_mul_hi_u32 s5, s4, s5
	s_add_i32 s4, s4, s5
	s_delay_alu instid0(SALU_CYCLE_1) | instskip(NEXT) | instid1(SALU_CYCLE_1)
	s_mul_hi_u32 s4, s2, s4
	s_mul_i32 s5, s4, s20
	s_add_i32 s6, s4, 1
	s_sub_i32 s5, s2, s5
	s_delay_alu instid0(SALU_CYCLE_1)
	s_sub_i32 s7, s5, s20
	s_cmp_ge_u32 s5, s20
	s_cselect_b32 s4, s6, s4
	s_cselect_b32 s5, s7, s5
	s_add_i32 s6, s4, 1
	s_cmp_ge_u32 s5, s20
	s_cselect_b32 s22, s6, s4
.LBB0_2:
	s_load_b128 s[4:7], s[14:15], 0x0
	s_clause 0x2
	s_load_b128 s[8:11], s[0:1], 0x8
	s_load_b64 s[16:17], s[0:1], 0x0
	s_load_b64 s[0:1], s[0:1], 0x58
	s_mul_i32 s24, s22, s21
	s_mul_hi_u32 s25, s22, s20
	s_mul_i32 s26, s22, s20
	s_add_i32 s25, s25, s24
	s_sub_u32 s37, s2, s26
	s_subb_u32 s24, 0, s25
	s_mul_hi_u32 s36, s37, 9
	s_mul_i32 s24, s24, 9
	s_mul_i32 s37, s37, 9
	s_add_i32 s36, s36, s24
	s_waitcnt lgkmcnt(0)
	s_mul_i32 s24, s6, s36
	v_cmp_lt_u64_e64 s26, s[10:11], 3
	s_mul_hi_u32 s25, s6, s37
	s_mul_i32 s38, s6, s37
	s_add_i32 s24, s25, s24
	s_mul_i32 s25, s7, s37
	s_delay_alu instid0(SALU_CYCLE_1)
	s_add_i32 s33, s24, s25
	s_and_b32 vcc_lo, exec_lo, s26
	s_cbranch_vccnz .LBB0_12
; %bb.3:
	s_add_u32 s24, s14, 16
	s_addc_u32 s25, s15, 0
	s_add_u32 s12, s12, 16
	s_addc_u32 s13, s13, 0
	s_mov_b64 s[26:27], 2
	s_mov_b32 s28, 0
.LBB0_4:                                ; =>This Inner Loop Header: Depth=1
	s_load_b64 s[30:31], s[12:13], 0x0
	s_waitcnt lgkmcnt(0)
	s_or_b64 s[34:35], s[22:23], s[30:31]
	s_delay_alu instid0(SALU_CYCLE_1) | instskip(NEXT) | instid1(SALU_CYCLE_1)
	s_mov_b32 s29, s35
                                        ; implicit-def: $sgpr34_sgpr35
	s_cmp_lg_u64 s[28:29], 0
	s_mov_b32 s29, -1
	s_cbranch_scc0 .LBB0_6
; %bb.5:                                ;   in Loop: Header=BB0_4 Depth=1
	v_cvt_f32_u32_e32 v1, s30
	v_cvt_f32_u32_e32 v2, s31
	s_sub_u32 s35, 0, s30
	s_subb_u32 s39, 0, s31
	s_delay_alu instid0(VALU_DEP_1) | instskip(NEXT) | instid1(VALU_DEP_1)
	v_fmac_f32_e32 v1, 0x4f800000, v2
	v_rcp_f32_e32 v1, v1
	s_waitcnt_depctr 0xfff
	v_mul_f32_e32 v1, 0x5f7ffffc, v1
	s_delay_alu instid0(VALU_DEP_1) | instskip(NEXT) | instid1(VALU_DEP_1)
	v_mul_f32_e32 v2, 0x2f800000, v1
	v_trunc_f32_e32 v2, v2
	s_delay_alu instid0(VALU_DEP_1) | instskip(SKIP_1) | instid1(VALU_DEP_2)
	v_fmac_f32_e32 v1, 0xcf800000, v2
	v_cvt_u32_f32_e32 v2, v2
	v_cvt_u32_f32_e32 v1, v1
	s_delay_alu instid0(VALU_DEP_2) | instskip(NEXT) | instid1(VALU_DEP_2)
	v_readfirstlane_b32 s29, v2
	v_readfirstlane_b32 s34, v1
	s_delay_alu instid0(VALU_DEP_2) | instskip(NEXT) | instid1(VALU_DEP_1)
	s_mul_i32 s40, s35, s29
	s_mul_hi_u32 s42, s35, s34
	s_mul_i32 s41, s39, s34
	s_add_i32 s40, s42, s40
	s_mul_i32 s43, s35, s34
	s_add_i32 s40, s40, s41
	s_mul_hi_u32 s42, s34, s43
	s_mul_hi_u32 s44, s29, s43
	s_mul_i32 s41, s29, s43
	s_mul_hi_u32 s43, s34, s40
	s_mul_i32 s34, s34, s40
	s_mul_hi_u32 s45, s29, s40
	s_add_u32 s34, s42, s34
	s_addc_u32 s42, 0, s43
	s_add_u32 s34, s34, s41
	s_mul_i32 s40, s29, s40
	s_addc_u32 s34, s42, s44
	s_addc_u32 s41, s45, 0
	s_add_u32 s34, s34, s40
	s_addc_u32 s40, 0, s41
	v_add_co_u32 v1, s34, v1, s34
	s_delay_alu instid0(VALU_DEP_1) | instskip(SKIP_1) | instid1(VALU_DEP_1)
	s_cmp_lg_u32 s34, 0
	s_addc_u32 s29, s29, s40
	v_readfirstlane_b32 s34, v1
	s_mul_i32 s40, s35, s29
	s_delay_alu instid0(VALU_DEP_1)
	s_mul_hi_u32 s41, s35, s34
	s_mul_i32 s39, s39, s34
	s_add_i32 s40, s41, s40
	s_mul_i32 s35, s35, s34
	s_add_i32 s40, s40, s39
	s_mul_hi_u32 s41, s29, s35
	s_mul_i32 s42, s29, s35
	s_mul_hi_u32 s35, s34, s35
	s_mul_hi_u32 s43, s34, s40
	s_mul_i32 s34, s34, s40
	s_mul_hi_u32 s39, s29, s40
	s_add_u32 s34, s35, s34
	s_addc_u32 s35, 0, s43
	s_add_u32 s34, s34, s42
	s_mul_i32 s40, s29, s40
	s_addc_u32 s34, s35, s41
	s_addc_u32 s35, s39, 0
	s_add_u32 s34, s34, s40
	s_addc_u32 s35, 0, s35
	v_add_co_u32 v1, s34, v1, s34
	s_delay_alu instid0(VALU_DEP_1) | instskip(SKIP_1) | instid1(VALU_DEP_1)
	s_cmp_lg_u32 s34, 0
	s_addc_u32 s29, s29, s35
	v_readfirstlane_b32 s34, v1
	s_mul_i32 s39, s22, s29
	s_mul_hi_u32 s35, s22, s29
	s_mul_hi_u32 s40, s23, s29
	s_mul_i32 s29, s23, s29
	s_mul_hi_u32 s41, s22, s34
	s_mul_hi_u32 s42, s23, s34
	s_mul_i32 s34, s23, s34
	s_add_u32 s39, s41, s39
	s_addc_u32 s35, 0, s35
	s_add_u32 s34, s39, s34
	s_addc_u32 s34, s35, s42
	s_addc_u32 s35, s40, 0
	s_add_u32 s34, s34, s29
	s_addc_u32 s35, 0, s35
	s_mul_hi_u32 s29, s30, s34
	s_mul_i32 s40, s30, s35
	s_mul_i32 s41, s30, s34
	s_add_i32 s29, s29, s40
	v_sub_co_u32 v1, s40, s22, s41
	s_mul_i32 s39, s31, s34
	s_delay_alu instid0(SALU_CYCLE_1) | instskip(NEXT) | instid1(VALU_DEP_1)
	s_add_i32 s29, s29, s39
	v_sub_co_u32 v2, s41, v1, s30
	s_sub_i32 s39, s23, s29
	s_cmp_lg_u32 s40, 0
	s_subb_u32 s39, s39, s31
	s_cmp_lg_u32 s41, 0
	v_readfirstlane_b32 s41, v2
	s_subb_u32 s39, s39, 0
	s_delay_alu instid0(SALU_CYCLE_1) | instskip(SKIP_1) | instid1(VALU_DEP_1)
	s_cmp_ge_u32 s39, s31
	s_cselect_b32 s42, -1, 0
	s_cmp_ge_u32 s41, s30
	s_cselect_b32 s41, -1, 0
	s_cmp_eq_u32 s39, s31
	s_cselect_b32 s39, s41, s42
	s_add_u32 s41, s34, 1
	s_addc_u32 s42, s35, 0
	s_add_u32 s43, s34, 2
	s_addc_u32 s44, s35, 0
	s_cmp_lg_u32 s39, 0
	s_cselect_b32 s39, s43, s41
	s_cselect_b32 s41, s44, s42
	s_cmp_lg_u32 s40, 0
	v_readfirstlane_b32 s40, v1
	s_subb_u32 s29, s23, s29
	s_delay_alu instid0(SALU_CYCLE_1) | instskip(SKIP_1) | instid1(VALU_DEP_1)
	s_cmp_ge_u32 s29, s31
	s_cselect_b32 s42, -1, 0
	s_cmp_ge_u32 s40, s30
	s_cselect_b32 s40, -1, 0
	s_cmp_eq_u32 s29, s31
	s_cselect_b32 s29, s40, s42
	s_delay_alu instid0(SALU_CYCLE_1)
	s_cmp_lg_u32 s29, 0
	s_mov_b32 s29, 0
	s_cselect_b32 s35, s41, s35
	s_cselect_b32 s34, s39, s34
.LBB0_6:                                ;   in Loop: Header=BB0_4 Depth=1
	s_and_not1_b32 vcc_lo, exec_lo, s29
	s_cbranch_vccnz .LBB0_8
; %bb.7:                                ;   in Loop: Header=BB0_4 Depth=1
	v_cvt_f32_u32_e32 v1, s30
	s_sub_i32 s34, 0, s30
	s_waitcnt_depctr 0xfff
	v_rcp_iflag_f32_e32 v1, v1
	s_waitcnt_depctr 0xfff
	v_mul_f32_e32 v1, 0x4f7ffffe, v1
	s_delay_alu instid0(VALU_DEP_1) | instskip(NEXT) | instid1(VALU_DEP_1)
	v_cvt_u32_f32_e32 v1, v1
	v_readfirstlane_b32 s29, v1
	s_delay_alu instid0(VALU_DEP_1) | instskip(NEXT) | instid1(SALU_CYCLE_1)
	s_mul_i32 s34, s34, s29
	s_mul_hi_u32 s34, s29, s34
	s_delay_alu instid0(SALU_CYCLE_1) | instskip(NEXT) | instid1(SALU_CYCLE_1)
	s_add_i32 s29, s29, s34
	s_mul_hi_u32 s29, s22, s29
	s_delay_alu instid0(SALU_CYCLE_1) | instskip(SKIP_2) | instid1(SALU_CYCLE_1)
	s_mul_i32 s34, s29, s30
	s_add_i32 s35, s29, 1
	s_sub_i32 s34, s22, s34
	s_sub_i32 s39, s34, s30
	s_cmp_ge_u32 s34, s30
	s_cselect_b32 s29, s35, s29
	s_cselect_b32 s34, s39, s34
	s_add_i32 s35, s29, 1
	s_cmp_ge_u32 s34, s30
	s_cselect_b32 s34, s35, s29
	s_mov_b32 s35, s28
.LBB0_8:                                ;   in Loop: Header=BB0_4 Depth=1
	s_load_b64 s[40:41], s[24:25], 0x0
	s_mul_i32 s21, s30, s21
	s_mul_hi_u32 s29, s30, s20
	s_mul_i32 s39, s31, s20
	s_mul_i32 s31, s34, s31
	s_mul_hi_u32 s42, s34, s30
	s_mul_i32 s43, s35, s30
	s_add_i32 s21, s29, s21
	s_add_i32 s29, s42, s31
	s_mul_i32 s44, s34, s30
	s_add_i32 s21, s21, s39
	s_add_i32 s29, s29, s43
	s_sub_u32 s22, s22, s44
	s_subb_u32 s23, s23, s29
	s_mul_i32 s20, s30, s20
	s_waitcnt lgkmcnt(0)
	s_mul_i32 s23, s40, s23
	s_mul_hi_u32 s29, s40, s22
	s_delay_alu instid0(SALU_CYCLE_1)
	s_add_i32 s23, s29, s23
	s_mul_i32 s29, s41, s22
	s_mul_i32 s22, s40, s22
	s_add_i32 s23, s23, s29
	s_add_u32 s38, s22, s38
	s_addc_u32 s33, s23, s33
	s_add_u32 s26, s26, 1
	s_addc_u32 s27, s27, 0
	s_add_u32 s24, s24, 8
	v_cmp_ge_u64_e64 s22, s[26:27], s[10:11]
	s_addc_u32 s25, s25, 0
	s_add_u32 s12, s12, 8
	s_addc_u32 s13, s13, 0
	s_delay_alu instid0(VALU_DEP_1)
	s_and_b32 vcc_lo, exec_lo, s22
	s_cbranch_vccnz .LBB0_10
; %bb.9:                                ;   in Loop: Header=BB0_4 Depth=1
	s_mov_b64 s[22:23], s[34:35]
	s_branch .LBB0_4
.LBB0_10:
	v_cmp_lt_u64_e64 s3, s[2:3], s[20:21]
	s_mov_b64 s[22:23], 0
	s_delay_alu instid0(VALU_DEP_1)
	s_and_b32 vcc_lo, exec_lo, s3
	s_cbranch_vccnz .LBB0_12
; %bb.11:
	v_cvt_f32_u32_e32 v1, s20
	s_sub_i32 s12, 0, s20
	s_delay_alu instid0(VALU_DEP_1) | instskip(SKIP_2) | instid1(VALU_DEP_1)
	v_rcp_iflag_f32_e32 v1, v1
	s_waitcnt_depctr 0xfff
	v_mul_f32_e32 v1, 0x4f7ffffe, v1
	v_cvt_u32_f32_e32 v1, v1
	s_delay_alu instid0(VALU_DEP_1) | instskip(NEXT) | instid1(VALU_DEP_1)
	v_readfirstlane_b32 s3, v1
	s_mul_i32 s12, s12, s3
	s_delay_alu instid0(SALU_CYCLE_1) | instskip(NEXT) | instid1(SALU_CYCLE_1)
	s_mul_hi_u32 s12, s3, s12
	s_add_i32 s3, s3, s12
	s_delay_alu instid0(SALU_CYCLE_1) | instskip(NEXT) | instid1(SALU_CYCLE_1)
	s_mul_hi_u32 s3, s2, s3
	s_mul_i32 s12, s3, s20
	s_delay_alu instid0(SALU_CYCLE_1)
	s_sub_i32 s2, s2, s12
	s_add_i32 s12, s3, 1
	s_sub_i32 s13, s2, s20
	s_cmp_ge_u32 s2, s20
	s_cselect_b32 s3, s12, s3
	s_cselect_b32 s2, s13, s2
	s_add_i32 s12, s3, 1
	s_cmp_ge_u32 s2, s20
	s_cselect_b32 s22, s12, s3
.LBB0_12:
	v_mul_u32_u24_e32 v1, 0x1c72, v0
	s_lshl_b64 s[2:3], s[10:11], 3
	s_delay_alu instid0(SALU_CYCLE_1) | instskip(SKIP_1) | instid1(VALU_DEP_1)
	s_add_u32 s2, s14, s2
	s_addc_u32 s3, s15, s3
	v_lshrrev_b32_e32 v205, 16, v1
	s_load_b64 s[2:3], s[2:3], 0x0
	s_delay_alu instid0(VALU_DEP_1)
	v_lshlrev_b32_e32 v2, 4, v205
	v_mul_lo_u16 v1, v205, 9
	v_add_nc_u32_e32 v207, 16, v205
	v_or_b32_e32 v206, 32, v205
	v_add_nc_u32_e32 v209, 48, v205
	scratch_store_b32 off, v2, off offset:36 ; 4-byte Folded Spill
	v_or_b32_e32 v2, 64, v205
	v_sub_nc_u16 v1, v0, v1
	scratch_store_b32 off, v2, off offset:32 ; 4-byte Folded Spill
	v_add_nc_u32_e32 v2, 0x50, v205
	v_and_b32_e32 v208, 0xffff, v1
	s_waitcnt lgkmcnt(0)
	s_mul_i32 s3, s3, s22
	scratch_store_b32 off, v2, off offset:28 ; 4-byte Folded Spill
	v_or_b32_e32 v2, 0x60, v205
	v_add_co_u32 v1, s11, s37, v208
	s_mul_hi_u32 s10, s2, s22
	s_mul_i32 s2, s2, s22
	scratch_store_b32 off, v2, off offset:24 ; 4-byte Folded Spill
	v_add_nc_u32_e32 v2, 0x70, v205
	s_add_i32 s10, s10, s3
	s_add_u32 s2, s2, s38
	s_addc_u32 s3, s10, s33
	s_add_u32 s10, s37, 9
	scratch_store_b32 off, v2, off offset:20 ; 4-byte Folded Spill
	v_or_b32_e32 v2, 0x80, v205
	v_mul_u32_u24_e32 v3, 0xd00, v208
	scratch_store_b32 off, v2, off offset:16 ; 4-byte Folded Spill
	v_add_co_ci_u32_e64 v2, null, s36, 0, s11
	s_addc_u32 s11, s36, 0
	s_delay_alu instid0(SALU_CYCLE_1) | instskip(NEXT) | instid1(VALU_DEP_2)
	v_cmp_le_u64_e64 s10, s[10:11], s[18:19]
	v_cmp_gt_u64_e32 vcc_lo, s[18:19], v[1:2]
	v_add_nc_u32_e32 v1, 0x90, v205
	scratch_store_b32 off, v1, off offset:12 ; 4-byte Folded Spill
	v_or_b32_e32 v1, 0xa0, v205
	s_or_b32 s33, s10, vcc_lo
	scratch_store_b32 off, v1, off offset:4 ; 4-byte Folded Spill
	v_add_nc_u32_e32 v1, 0xb0, v205
	scratch_store_b32 off, v1, off offset:8 ; 4-byte Folded Spill
	v_or_b32_e32 v1, 0xc0, v205
	s_clause 0x1
	scratch_store_b32 off, v3, off offset:40
	scratch_store_b32 off, v1, off
	s_and_saveexec_b32 s10, s33
	s_cbranch_execz .LBB0_14
; %bb.13:
	v_mad_u64_u32 v[1:2], null, s6, v208, 0
	v_mad_u64_u32 v[3:4], null, s4, v205, 0
	;; [unrolled: 1-line block ×4, first 2 shown]
	s_lshl_b64 s[12:13], s[2:3], 4
	v_or_b32_e32 v21, 64, v205
	s_delay_alu instid0(VALU_DEP_4) | instskip(SKIP_4) | instid1(VALU_DEP_4)
	v_mad_u64_u32 v[7:8], null, s7, v208, v[2:3]
	v_mad_u64_u32 v[8:9], null, s4, v206, 0
	;; [unrolled: 1-line block ×3, first 2 shown]
	v_or_b32_e32 v29, 0x60, v205
	s_add_u32 s11, s0, s12
	v_mov_b32_e32 v2, v7
	s_delay_alu instid0(VALU_DEP_4) | instskip(SKIP_2) | instid1(VALU_DEP_2)
	v_dual_mov_b32 v7, v11 :: v_dual_mov_b32 v4, v9
	s_addc_u32 s12, s1, s13
	v_mad_u64_u32 v[17:18], null, s4, v21, 0
	v_mad_u64_u32 v[13:14], null, s5, v207, v[6:7]
	s_delay_alu instid0(VALU_DEP_3)
	v_mad_u64_u32 v[14:15], null, s5, v206, v[4:5]
	v_mov_b32_e32 v4, v12
	v_mad_u64_u32 v[25:26], null, s4, v29, 0
	v_add_nc_u32_e32 v12, 0x50, v205
	v_mov_b32_e32 v6, v13
	v_or_b32_e32 v32, 0x80, v205
	v_mov_b32_e32 v9, v14
	v_lshlrev_b64 v[1:2], 4, v[1:2]
	v_mad_u64_u32 v[19:20], null, s4, v12, 0
	s_delay_alu instid0(VALU_DEP_4) | instskip(SKIP_1) | instid1(VALU_DEP_4)
	v_mad_u64_u32 v[33:34], null, s4, v32, 0
	v_or_b32_e32 v46, 0xc0, v205
	v_add_co_u32 v49, vcc_lo, s11, v1
	v_add_co_ci_u32_e32 v50, vcc_lo, s12, v2, vcc_lo
	v_lshlrev_b64 v[1:2], 4, v[3:4]
	v_mad_u64_u32 v[3:4], null, s5, v209, v[7:8]
	v_lshlrev_b64 v[4:5], 4, v[5:6]
	v_lshlrev_b64 v[6:7], 4, v[8:9]
	v_mul_u32_u24_e32 v54, 0xd00, v208
	v_add_co_u32 v1, vcc_lo, v49, v1
	v_add_co_ci_u32_e32 v2, vcc_lo, v50, v2, vcc_lo
	v_mov_b32_e32 v11, v3
	v_add_co_u32 v8, vcc_lo, v49, v4
	v_add_co_ci_u32_e32 v9, vcc_lo, v50, v5, vcc_lo
	v_mov_b32_e32 v5, v18
	s_delay_alu instid0(VALU_DEP_4) | instskip(SKIP_3) | instid1(VALU_DEP_4)
	v_lshlrev_b64 v[3:4], 4, v[10:11]
	v_add_co_u32 v10, vcc_lo, v49, v6
	v_dual_mov_b32 v6, v20 :: v_dual_add_nc_u32 v43, 0x90, v205
	v_add_co_ci_u32_e32 v11, vcc_lo, v50, v7, vcc_lo
	v_add_co_u32 v13, vcc_lo, v49, v3
	s_delay_alu instid0(VALU_DEP_3) | instskip(NEXT) | instid1(VALU_DEP_4)
	v_mad_u64_u32 v[15:16], null, s5, v21, v[5:6]
	v_mad_u64_u32 v[35:36], null, s4, v43, 0
	v_add_nc_u32_e32 v30, 0x70, v205
	v_mad_u64_u32 v[20:21], null, s5, v12, v[6:7]
	s_delay_alu instid0(VALU_DEP_4) | instskip(NEXT) | instid1(VALU_DEP_3)
	v_dual_mov_b32 v21, v26 :: v_dual_mov_b32 v18, v15
	v_mad_u64_u32 v[27:28], null, s4, v30, 0
	v_add_co_ci_u32_e32 v14, vcc_lo, v50, v4, vcc_lo
	v_add_nc_u32_e32 v45, 0xb0, v205
	s_delay_alu instid0(VALU_DEP_4)
	v_lshlrev_b64 v[17:18], 4, v[17:18]
	v_lshlrev_b64 v[19:20], 4, v[19:20]
	s_clause 0x1
	global_load_b128 v[1:4], v[1:2], off
	global_load_b128 v[5:8], v[8:9], off
	v_mov_b32_e32 v22, v28
	v_mad_u64_u32 v[39:40], null, s4, v45, 0
	v_add_co_u32 v17, vcc_lo, v49, v17
	s_delay_alu instid0(VALU_DEP_3)
	v_mad_u64_u32 v[23:24], null, s5, v29, v[21:22]
	v_add_co_ci_u32_e32 v18, vcc_lo, v50, v18, vcc_lo
	v_lshlrev_b32_e32 v53, 4, v205
	v_add_co_u32 v21, vcc_lo, v49, v19
	s_clause 0x1
	global_load_b128 v[9:12], v[10:11], off
	global_load_b128 v[13:16], v[13:14], off
	v_mad_u64_u32 v[28:29], null, s5, v30, v[22:23]
	v_dual_mov_b32 v29, v34 :: v_dual_mov_b32 v26, v23
	v_add_co_ci_u32_e32 v22, vcc_lo, v50, v20, vcc_lo
	s_clause 0x1
	global_load_b128 v[17:20], v[17:18], off
	global_load_b128 v[21:24], v[21:22], off
	v_mad_u64_u32 v[30:31], null, s5, v32, v[29:30]
	v_or_b32_e32 v29, 0xa0, v205
	v_lshlrev_b64 v[25:26], 4, v[25:26]
	v_lshlrev_b64 v[27:28], 4, v[27:28]
	v_add3_u32 v53, 0, v54, v53
	s_delay_alu instid0(VALU_DEP_4) | instskip(NEXT) | instid1(VALU_DEP_4)
	v_mad_u64_u32 v[37:38], null, s4, v29, 0
	v_add_co_u32 v25, vcc_lo, v49, v25
	v_add_co_ci_u32_e32 v26, vcc_lo, v50, v26, vcc_lo
	v_add_co_u32 v31, vcc_lo, v49, v27
	v_add_co_ci_u32_e32 v32, vcc_lo, v50, v28, vcc_lo
	v_dual_mov_b32 v27, v36 :: v_dual_mov_b32 v28, v38
	v_mov_b32_e32 v34, v30
	s_delay_alu instid0(VALU_DEP_2) | instskip(SKIP_2) | instid1(VALU_DEP_4)
	v_mad_u64_u32 v[41:42], null, s5, v43, v[27:28]
	v_mad_u64_u32 v[42:43], null, s5, v29, v[28:29]
	;; [unrolled: 1-line block ×3, first 2 shown]
	v_lshlrev_b64 v[33:34], 4, v[33:34]
	s_clause 0x1
	global_load_b128 v[25:28], v[25:26], off
	global_load_b128 v[29:32], v[31:32], off
	v_mov_b32_e32 v36, v41
	v_mov_b32_e32 v38, v42
	v_mad_u64_u32 v[41:42], null, s5, v45, v[40:41]
	v_mov_b32_e32 v40, v44
	s_delay_alu instid0(VALU_DEP_4)
	v_lshlrev_b64 v[35:36], 4, v[35:36]
	v_add_co_u32 v33, vcc_lo, v49, v33
	v_lshlrev_b64 v[37:38], 4, v[37:38]
	v_add_co_ci_u32_e32 v34, vcc_lo, v50, v34, vcc_lo
	v_mad_u64_u32 v[44:45], null, s5, v46, v[40:41]
	v_mov_b32_e32 v40, v41
	v_add_co_u32 v41, vcc_lo, v49, v35
	v_add_co_ci_u32_e32 v42, vcc_lo, v50, v36, vcc_lo
	s_delay_alu instid0(VALU_DEP_3) | instskip(SKIP_3) | instid1(VALU_DEP_4)
	v_lshlrev_b64 v[35:36], 4, v[39:40]
	v_add_co_u32 v45, vcc_lo, v49, v37
	v_add_co_ci_u32_e32 v46, vcc_lo, v50, v38, vcc_lo
	v_lshlrev_b64 v[37:38], 4, v[43:44]
	v_add_co_u32 v47, vcc_lo, v49, v35
	v_add_co_ci_u32_e32 v48, vcc_lo, v50, v36, vcc_lo
	s_delay_alu instid0(VALU_DEP_3) | instskip(NEXT) | instid1(VALU_DEP_4)
	v_add_co_u32 v49, vcc_lo, v49, v37
	v_add_co_ci_u32_e32 v50, vcc_lo, v50, v38, vcc_lo
	s_clause 0x4
	global_load_b128 v[33:36], v[33:34], off
	global_load_b128 v[37:40], v[41:42], off
	;; [unrolled: 1-line block ×5, first 2 shown]
	s_waitcnt vmcnt(12)
	ds_store_b128 v53, v[1:4]
	s_waitcnt vmcnt(11)
	ds_store_b128 v53, v[5:8] offset:256
	s_waitcnt vmcnt(10)
	ds_store_b128 v53, v[9:12] offset:512
	;; [unrolled: 2-line block ×12, first 2 shown]
.LBB0_14:
	s_or_b32 exec_lo, exec_lo, s10
	s_add_u32 s10, 0, 0x71c4fc00
	s_addc_u32 s11, 0, 0x7c
	s_mul_hi_u32 s13, s10, -9
	s_add_i32 s11, s11, 0x1c71c6a0
	s_sub_i32 s13, s13, s10
	s_mul_i32 s14, s11, -9
	s_mul_i32 s12, s10, -9
	s_add_i32 s13, s13, s14
	s_mul_hi_u32 s15, s11, s12
	s_mul_i32 s14, s11, s12
	s_mul_i32 s18, s10, s13
	s_mul_hi_u32 s12, s10, s12
	s_mul_hi_u32 s19, s10, s13
	s_add_u32 s12, s12, s18
	s_addc_u32 s18, 0, s19
	s_mul_hi_u32 s19, s11, s13
	s_add_u32 s12, s12, s14
	s_addc_u32 s12, s18, s15
	s_mul_i32 s13, s11, s13
	v_lshrrev_b32_e32 v1, 4, v0
	s_addc_u32 s14, s19, 0
	s_add_u32 s12, s12, s13
	s_waitcnt lgkmcnt(0)
	s_waitcnt_vscnt null, 0x0
	v_add_co_u32 v5, s10, s10, s12
	s_addc_u32 s12, 0, s14
	s_cmp_lg_u32 s10, 0
	v_add_co_u32 v92, s10, s37, v1
	s_delay_alu instid0(VALU_DEP_1) | instskip(SKIP_1) | instid1(VALU_DEP_2)
	v_add_co_ci_u32_e64 v6, null, s36, 0, s10
	s_addc_u32 s10, s11, s12
	v_mul_hi_u32 v7, v92, v5
	v_mad_u64_u32 v[1:2], null, v92, s10, 0
	s_delay_alu instid0(VALU_DEP_3)
	v_mad_u64_u32 v[3:4], null, v6, v5, 0
	s_barrier
	buffer_gl0_inv
	s_mov_b32 s18, 0x42a4c3d2
	s_mov_b32 s20, 0x66966769
	v_add_co_u32 v5, vcc_lo, v7, v1
	v_add_co_ci_u32_e32 v7, vcc_lo, 0, v2, vcc_lo
	v_mad_u64_u32 v[1:2], null, v6, s10, 0
	s_delay_alu instid0(VALU_DEP_3) | instskip(NEXT) | instid1(VALU_DEP_3)
	v_add_co_u32 v3, vcc_lo, v5, v3
	v_add_co_ci_u32_e32 v3, vcc_lo, v7, v4, vcc_lo
	s_mov_b32 s14, 0x2ef20147
	s_mov_b32 s36, 0x24c2f84
	s_delay_alu instid0(VALU_DEP_3) | instskip(NEXT) | instid1(VALU_DEP_2)
	v_add_co_ci_u32_e32 v2, vcc_lo, 0, v2, vcc_lo
	v_add_co_u32 v3, vcc_lo, v3, v1
	s_mov_b32 s38, 0x4bc48dbf
	s_delay_alu instid0(VALU_DEP_2) | instskip(NEXT) | instid1(VALU_DEP_2)
	v_add_co_ci_u32_e32 v5, vcc_lo, 0, v2, vcc_lo
	v_mad_u64_u32 v[1:2], null, v3, 9, 0
	s_mov_b32 s13, 0xbfddbe06
	s_mov_b32 s12, 0x4267c47c
	;; [unrolled: 1-line block ×6, first 2 shown]
	s_delay_alu instid0(VALU_DEP_1)
	v_mad_u64_u32 v[3:4], null, v5, 9, v[2:3]
	v_sub_co_u32 v1, vcc_lo, v92, v1
	s_mov_b32 s39, 0xbfcea1e5
	s_mov_b32 s10, 0xe00740e9
	;; [unrolled: 1-line block ×4, first 2 shown]
	s_delay_alu instid0(VALU_DEP_2) | instskip(SKIP_2) | instid1(VALU_DEP_2)
	v_sub_co_ci_u32_e32 v2, vcc_lo, v6, v3, vcc_lo
	v_sub_co_u32 v3, vcc_lo, v1, 9
	s_mov_b32 s28, 0xb2365da1
	v_subrev_co_ci_u32_e32 v4, vcc_lo, 0, v2, vcc_lo
	s_delay_alu instid0(VALU_DEP_2)
	v_cmp_lt_u32_e32 vcc_lo, 8, v3
	s_mov_b32 s24, 0xd0032e0c
	s_mov_b32 s30, 0x93053d00
	;; [unrolled: 1-line block ×4, first 2 shown]
	v_cndmask_b32_e64 v5, 0, -1, vcc_lo
	v_cmp_lt_u32_e32 vcc_lo, 8, v1
	s_mov_b32 s27, 0x3fbedb7d
	s_mov_b32 s29, 0xbfd6b1d8
	;; [unrolled: 1-line block ×4, first 2 shown]
	v_cndmask_b32_e64 v6, 0, -1, vcc_lo
	v_cmp_eq_u32_e32 vcc_lo, 0, v4
	s_mov_b32 s43, 0x3fe5384d
	s_mov_b32 s35, 0x3fefc445
	;; [unrolled: 1-line block ×4, first 2 shown]
	v_dual_cndmask_b32 v4, -1, v5 :: v_dual_add_nc_u32 v5, -9, v3
	v_cmp_eq_u32_e32 vcc_lo, 0, v2
	v_and_b32_e32 v58, 15, v0
	s_mov_b32 s34, s20
	s_mov_b32 s40, s18
	;; [unrolled: 1-line block ×3, first 2 shown]
	v_cndmask_b32_e32 v2, -1, v6, vcc_lo
	v_cmp_ne_u32_e32 vcc_lo, 0, v4
	s_mov_b32 s44, s14
	s_mov_b32 s47, 0x3fcea1e5
	;; [unrolled: 1-line block ×3, first 2 shown]
	v_cndmask_b32_e32 v3, v3, v5, vcc_lo
	v_cmp_ne_u32_e32 vcc_lo, 0, v2
	s_delay_alu instid0(VALU_DEP_2) | instskip(SKIP_1) | instid1(VALU_DEP_2)
	v_cndmask_b32_e32 v1, v1, v3, vcc_lo
	v_cmp_gt_u32_e32 vcc_lo, 13, v58
	v_mul_u32_u24_e32 v1, 0xd0, v1
	s_delay_alu instid0(VALU_DEP_1) | instskip(SKIP_1) | instid1(VALU_DEP_2)
	v_lshlrev_b32_e32 v0, 4, v1
	v_lshlrev_b32_e32 v1, 4, v58
	v_add_nc_u32_e32 v59, 0, v0
	s_delay_alu instid0(VALU_DEP_2) | instskip(NEXT) | instid1(VALU_DEP_2)
	v_add3_u32 v211, 0, v1, v0
	v_add_nc_u32_e32 v210, v59, v1
	ds_load_b128 v[0:3], v210
	ds_load_b128 v[4:7], v211 offset:256
	ds_load_b128 v[20:23], v211 offset:512
	;; [unrolled: 1-line block ×3, first 2 shown]
	s_waitcnt lgkmcnt(2)
	v_add_f64 v[8:9], v[0:1], v[4:5]
	v_add_f64 v[10:11], v[2:3], v[6:7]
	s_waitcnt lgkmcnt(1)
	s_delay_alu instid0(VALU_DEP_2) | instskip(NEXT) | instid1(VALU_DEP_2)
	v_add_f64 v[32:33], v[8:9], v[20:21]
	v_add_f64 v[34:35], v[10:11], v[22:23]
	ds_load_b128 v[40:43], v211 offset:1024
	ds_load_b128 v[36:39], v211 offset:1280
	;; [unrolled: 1-line block ×8, first 2 shown]
	s_waitcnt lgkmcnt(5)
	v_add_f64 v[44:45], v[36:37], -v[8:9]
	s_waitcnt lgkmcnt(2)
	v_add_f64 v[80:81], v[42:43], -v[30:31]
	v_add_f64 v[46:47], v[40:41], -v[28:29]
	v_add_f64 v[86:87], v[40:41], v[28:29]
	v_add_f64 v[88:89], v[42:43], v[30:31]
	v_add_f64 v[48:49], v[38:39], -v[10:11]
	v_add_f64 v[82:83], v[36:37], v[8:9]
	v_add_f64 v[84:85], v[38:39], v[10:11]
	v_add_f64 v[72:73], v[22:23], -v[14:15]
	v_add_f64 v[74:75], v[20:21], -v[12:13]
	;; [unrolled: 1-line block ×4, first 2 shown]
	s_waitcnt lgkmcnt(0)
	v_add_f64 v[50:51], v[60:61], -v[64:65]
	v_add_f64 v[52:53], v[62:63], -v[66:67]
	v_add_f64 v[54:55], v[60:61], v[64:65]
	v_add_f64 v[56:57], v[62:63], v[66:67]
	;; [unrolled: 1-line block ×6, first 2 shown]
	ds_load_b128 v[32:35], v211 offset:3072
	v_add_f64 v[16:17], v[16:17], v[24:25]
	v_add_f64 v[18:19], v[18:19], v[26:27]
	s_waitcnt lgkmcnt(0)
	s_barrier
	buffer_gl0_inv
	v_mul_f64 v[105:106], v[44:45], s[36:37]
	v_mul_f64 v[171:172], v[80:81], s[40:41]
	;; [unrolled: 1-line block ×18, first 2 shown]
	v_add_f64 v[40:41], v[68:69], v[40:41]
	v_add_f64 v[42:43], v[70:71], v[42:43]
	v_add_f64 v[68:69], v[6:7], -v[34:35]
	v_add_f64 v[70:71], v[4:5], -v[32:33]
	v_add_f64 v[4:5], v[4:5], v[32:33]
	v_add_f64 v[6:7], v[6:7], v[34:35]
	v_mul_f64 v[95:96], v[76:77], s[20:21]
	v_mul_f64 v[97:98], v[78:79], s[20:21]
	;; [unrolled: 1-line block ×18, first 2 shown]
	v_fma_f64 v[222:223], v[86:87], s[24:25], -v[119:120]
	v_fma_f64 v[119:120], v[86:87], s[24:25], v[119:120]
	v_mul_f64 v[109:110], v[50:51], s[38:39]
	v_mul_f64 v[139:140], v[52:53], s[36:37]
	v_fma_f64 v[193:194], v[20:21], s[22:23], v[90:91]
	v_fma_f64 v[195:196], v[22:23], s[22:23], -v[93:94]
	v_fma_f64 v[214:215], v[20:21], s[28:29], -v[111:112]
	v_fma_f64 v[216:217], v[22:23], s[28:29], v[113:114]
	v_fma_f64 v[224:225], v[20:21], s[30:31], -v[127:128]
	v_fma_f64 v[226:227], v[22:23], s[30:31], v[129:130]
	;; [unrolled: 2-line block ×4, first 2 shown]
	v_add_f64 v[36:37], v[40:41], v[36:37]
	v_add_f64 v[38:39], v[42:43], v[38:39]
	v_mul_f64 v[173:174], v[68:69], s[12:13]
	v_mul_f64 v[175:176], v[70:71], s[12:13]
	;; [unrolled: 1-line block ×12, first 2 shown]
	s_mov_b32 s13, 0x3fddbe06
	v_fma_f64 v[90:91], v[20:21], s[22:23], -v[90:91]
	v_mul_f64 v[72:73], v[72:73], s[12:13]
	v_mul_f64 v[74:75], v[74:75], s[12:13]
	;; [unrolled: 1-line block ×4, first 2 shown]
	v_fma_f64 v[111:112], v[20:21], s[28:29], v[111:112]
	v_fma_f64 v[127:128], v[20:21], s[30:31], v[127:128]
	;; [unrolled: 1-line block ×5, first 2 shown]
	v_fma_f64 v[113:114], v[22:23], s[28:29], -v[113:114]
	v_fma_f64 v[129:130], v[22:23], s[30:31], -v[129:130]
	;; [unrolled: 1-line block ×4, first 2 shown]
	v_mul_f64 v[40:41], v[80:81], s[20:21]
	v_mul_f64 v[42:43], v[46:47], s[20:21]
	;; [unrolled: 1-line block ×3, first 2 shown]
	v_fma_f64 v[212:213], v[16:17], s[26:27], v[95:96]
	v_fma_f64 v[218:219], v[16:17], s[30:31], -v[115:116]
	v_fma_f64 v[220:221], v[18:19], s[30:31], v[117:118]
	v_fma_f64 v[228:229], v[16:17], s[28:29], -v[131:132]
	;; [unrolled: 2-line block ×3, first 2 shown]
	v_add_f64 v[36:37], v[36:37], v[60:61]
	v_add_f64 v[38:39], v[38:39], v[62:63]
	v_fma_f64 v[246:247], v[4:5], s[10:11], -v[173:174]
	v_fma_f64 v[248:249], v[6:7], s[10:11], v[175:176]
	v_fma_f64 v[173:174], v[4:5], s[10:11], v[173:174]
	v_fma_f64 v[175:176], v[6:7], s[10:11], -v[175:176]
	v_fma_f64 v[250:251], v[4:5], s[22:23], -v[177:178]
	v_fma_f64 v[177:178], v[4:5], s[22:23], v[177:178]
	v_fma_f64 v[252:253], v[4:5], s[26:27], -v[179:180]
	v_fma_f64 v[179:180], v[4:5], s[26:27], v[179:180]
	v_fma_f64 v[254:255], v[6:7], s[22:23], v[185:186]
	v_fma_f64 v[197:198], v[4:5], s[28:29], -v[181:182]
	v_fma_f64 v[185:186], v[6:7], s[22:23], -v[185:186]
	v_fma_f64 v[181:182], v[4:5], s[28:29], v[181:182]
	v_fma_f64 v[199:200], v[6:7], s[26:27], v[187:188]
	v_fma_f64 v[201:202], v[4:5], s[24:25], -v[183:184]
	;; [unrolled: 4-line block ×3, first 2 shown]
	v_fma_f64 v[60:61], v[18:19], s[26:27], -v[97:98]
	v_fma_f64 v[244:245], v[18:19], s[22:23], v[161:162]
	v_fma_f64 v[95:96], v[16:17], s[26:27], -v[95:96]
	v_fma_f64 v[115:116], v[16:17], s[30:31], v[115:116]
	v_fma_f64 v[131:132], v[16:17], s[28:29], v[131:132]
	;; [unrolled: 1-line block ×4, first 2 shown]
	v_fma_f64 v[117:118], v[18:19], s[30:31], -v[117:118]
	v_fma_f64 v[133:134], v[18:19], s[28:29], -v[133:134]
	;; [unrolled: 1-line block ×3, first 2 shown]
	v_fma_f64 v[62:63], v[86:87], s[28:29], v[99:100]
	v_fma_f64 v[236:237], v[86:87], s[26:27], -v[40:41]
	v_fma_f64 v[99:100], v[86:87], s[28:29], -v[99:100]
	v_fma_f64 v[40:41], v[86:87], s[26:27], v[40:41]
	v_mul_f64 v[141:142], v[50:51], s[36:37]
	v_mul_f64 v[151:152], v[52:53], s[40:41]
	;; [unrolled: 1-line block ×3, first 2 shown]
	v_add_f64 v[36:37], v[36:37], v[64:65]
	v_add_f64 v[38:39], v[38:39], v[66:67]
	v_fma_f64 v[64:65], v[6:7], s[24:25], v[191:192]
	v_fma_f64 v[66:67], v[4:5], s[30:31], -v[68:69]
	v_fma_f64 v[191:192], v[6:7], s[24:25], -v[191:192]
	v_fma_f64 v[4:5], v[4:5], s[30:31], v[68:69]
	v_fma_f64 v[68:69], v[6:7], s[30:31], v[70:71]
	v_fma_f64 v[6:7], v[6:7], s[30:31], -v[70:71]
	v_add_f64 v[246:247], v[0:1], v[246:247]
	v_add_f64 v[248:249], v[2:3], v[248:249]
	;; [unrolled: 1-line block ×18, first 2 shown]
	v_fma_f64 v[70:71], v[86:87], s[30:31], -v[163:164]
	v_fma_f64 v[163:164], v[86:87], s[30:31], v[163:164]
	v_add_f64 v[8:9], v[36:37], v[8:9]
	v_add_f64 v[10:11], v[38:39], v[10:11]
	v_add_f64 v[64:65], v[2:3], v[64:65]
	v_add_f64 v[66:67], v[0:1], v[66:67]
	v_add_f64 v[191:192], v[2:3], v[191:192]
	v_add_f64 v[0:1], v[0:1], v[4:5]
	v_add_f64 v[68:69], v[2:3], v[68:69]
	v_add_f64 v[2:3], v[2:3], v[6:7]
	v_fma_f64 v[36:37], v[86:87], s[22:23], -v[171:172]
	v_fma_f64 v[38:39], v[86:87], s[22:23], v[171:172]
	v_fma_f64 v[171:172], v[20:21], s[10:11], -v[72:73]
	v_fma_f64 v[20:21], v[20:21], s[10:11], v[72:73]
	v_fma_f64 v[72:73], v[22:23], s[10:11], v[74:75]
	v_fma_f64 v[22:23], v[22:23], s[10:11], -v[74:75]
	v_fma_f64 v[4:5], v[16:17], s[24:25], -v[167:168]
	v_fma_f64 v[6:7], v[16:17], s[24:25], v[167:168]
	v_fma_f64 v[167:168], v[18:19], s[24:25], v[169:170]
	v_fma_f64 v[169:170], v[18:19], s[24:25], -v[169:170]
	;; [unrolled: 4-line block ×3, first 2 shown]
	v_add_f64 v[173:174], v[193:194], v[173:174]
	v_add_f64 v[175:176], v[195:196], v[175:176]
	v_mul_f64 v[195:196], v[46:47], s[40:41]
	v_add_f64 v[214:215], v[214:215], v[250:251]
	v_add_f64 v[216:217], v[216:217], v[254:255]
	;; [unrolled: 1-line block ×4, first 2 shown]
	v_mul_f64 v[46:47], v[46:47], s[12:13]
	v_add_f64 v[197:198], v[232:233], v[197:198]
	v_add_f64 v[203:204], v[234:235], v[203:204]
	;; [unrolled: 1-line block ×14, first 2 shown]
	v_fma_f64 v[78:79], v[86:87], s[10:11], -v[80:81]
	v_fma_f64 v[80:81], v[86:87], s[10:11], v[80:81]
	v_mul_f64 v[250:251], v[48:49], s[14:15]
	v_mul_f64 v[254:255], v[44:45], s[14:15]
	v_add_f64 v[66:67], v[171:172], v[66:67]
	v_add_f64 v[0:1], v[20:21], v[0:1]
	;; [unrolled: 1-line block ×4, first 2 shown]
	v_mul_f64 v[48:49], v[48:49], s[12:13]
	v_mul_f64 v[44:45], v[44:45], s[12:13]
	v_fma_f64 v[232:233], v[88:89], s[28:29], -v[101:102]
	v_fma_f64 v[177:178], v[88:89], s[24:25], v[121:122]
	v_fma_f64 v[171:172], v[88:89], s[26:27], v[42:43]
	v_fma_f64 v[20:21], v[88:89], s[30:31], v[165:166]
	v_fma_f64 v[101:102], v[88:89], s[28:29], v[101:102]
	v_fma_f64 v[121:122], v[88:89], s[24:25], -v[121:122]
	v_fma_f64 v[42:43], v[88:89], s[26:27], -v[42:43]
	v_fma_f64 v[165:166], v[88:89], s[30:31], -v[165:166]
	v_fma_f64 v[22:23], v[88:89], s[22:23], v[195:196]
	v_fma_f64 v[195:196], v[88:89], s[22:23], -v[195:196]
	v_add_f64 v[173:174], v[212:213], v[173:174]
	v_add_f64 v[60:61], v[60:61], v[175:176]
	;; [unrolled: 1-line block ×3, first 2 shown]
	v_fma_f64 v[187:188], v[88:89], s[10:11], v[46:47]
	v_fma_f64 v[46:47], v[88:89], s[10:11], -v[46:47]
	v_add_f64 v[216:217], v[220:221], v[216:217]
	v_add_f64 v[224:225], v[228:229], v[224:225]
	;; [unrolled: 1-line block ×23, first 2 shown]
	v_mul_f64 v[86:87], v[52:53], s[14:15]
	v_mul_f64 v[193:194], v[50:51], s[14:15]
	;; [unrolled: 1-line block ×6, first 2 shown]
	v_fma_f64 v[234:235], v[82:83], s[24:25], v[103:104]
	v_fma_f64 v[238:239], v[84:85], s[24:25], -v[105:106]
	v_fma_f64 v[240:241], v[54:55], s[30:31], v[107:108]
	v_fma_f64 v[185:186], v[82:83], s[26:27], -v[123:124]
	;; [unrolled: 2-line block ×5, first 2 shown]
	v_fma_f64 v[123:124], v[82:83], s[26:27], v[123:124]
	v_fma_f64 v[135:136], v[82:83], s[22:23], v[135:136]
	;; [unrolled: 1-line block ×3, first 2 shown]
	v_fma_f64 v[220:221], v[82:83], s[28:29], -v[250:251]
	v_fma_f64 v[250:251], v[82:83], s[28:29], v[250:251]
	v_fma_f64 v[125:126], v[84:85], s[26:27], -v[125:126]
	v_fma_f64 v[137:138], v[84:85], s[22:23], -v[137:138]
	;; [unrolled: 1-line block ×3, first 2 shown]
	v_fma_f64 v[93:94], v[84:85], s[28:29], v[254:255]
	v_fma_f64 v[97:98], v[84:85], s[28:29], -v[254:255]
	v_fma_f64 v[105:106], v[84:85], s[24:25], v[105:106]
	v_fma_f64 v[117:118], v[54:55], s[30:31], -v[107:108]
	v_fma_f64 v[107:108], v[82:83], s[10:11], -v[48:49]
	v_fma_f64 v[131:132], v[84:85], s[10:11], v[44:45]
	v_fma_f64 v[48:49], v[82:83], s[10:11], v[48:49]
	v_fma_f64 v[44:45], v[84:85], s[10:11], -v[44:45]
	v_add_f64 v[62:63], v[62:63], v[173:174]
	v_add_f64 v[60:61], v[232:233], v[60:61]
	v_add_f64 v[82:83], v[222:223], v[214:215]
	v_add_f64 v[84:85], v[177:178], v[216:217]
	v_add_f64 v[78:79], v[78:79], v[224:225]
	v_add_f64 v[133:134], v[187:188], v[199:200]
	v_add_f64 v[74:75], v[236:237], v[74:75]
	v_add_f64 v[76:77], v[171:172], v[76:77]
	v_add_f64 v[70:71], v[70:71], v[197:198]
	v_add_f64 v[20:21], v[20:21], v[64:65]
	v_add_f64 v[64:65], v[99:100], v[90:91]
	v_add_f64 v[90:91], v[119:120], v[95:96]
	v_add_f64 v[80:81], v[80:81], v[111:112]
	v_add_f64 v[16:17], v[40:41], v[16:17]
	v_add_f64 v[40:41], v[163:164], v[115:116]
	v_add_f64 v[4:5], v[36:37], v[4:5]
	v_add_f64 v[22:23], v[22:23], v[66:67]
	v_add_f64 v[0:1], v[38:39], v[0:1]
	v_add_f64 v[2:3], v[195:196], v[2:3]
	v_add_f64 v[6:7], v[165:166], v[6:7]
	v_add_f64 v[18:19], v[42:43], v[18:19]
	v_add_f64 v[36:37], v[46:47], v[68:69]
	v_add_f64 v[38:39], v[121:122], v[113:114]
	v_add_f64 v[8:9], v[8:9], v[24:25]
	v_add_f64 v[10:11], v[10:11], v[26:27]
	v_add_f64 v[24:25], v[101:102], v[28:29]
	v_fma_f64 v[246:247], v[56:57], s[30:31], -v[109:110]
	v_fma_f64 v[183:184], v[54:55], s[24:25], -v[139:140]
	v_fma_f64 v[191:192], v[56:57], s[24:25], v[141:142]
	v_fma_f64 v[248:249], v[54:55], s[22:23], -v[151:152]
	v_fma_f64 v[212:213], v[56:57], s[22:23], v[153:154]
	;; [unrolled: 2-line block ×3, first 2 shown]
	v_fma_f64 v[127:128], v[54:55], s[24:25], v[139:140]
	v_fma_f64 v[129:130], v[54:55], s[22:23], v[151:152]
	;; [unrolled: 1-line block ×3, first 2 shown]
	v_fma_f64 v[26:27], v[54:55], s[26:27], -v[252:253]
	v_fma_f64 v[28:29], v[54:55], s[26:27], v[252:253]
	v_fma_f64 v[42:43], v[56:57], s[26:27], v[226:227]
	v_fma_f64 v[46:47], v[56:57], s[26:27], -v[226:227]
	v_fma_f64 v[66:67], v[56:57], s[28:29], -v[193:194]
	v_fma_f64 v[68:69], v[56:57], s[22:23], -v[153:154]
	v_fma_f64 v[95:96], v[56:57], s[24:25], -v[141:142]
	v_fma_f64 v[99:100], v[56:57], s[30:31], v[109:110]
	v_fma_f64 v[101:102], v[54:55], s[10:11], -v[52:53]
	v_fma_f64 v[110:111], v[56:57], s[10:11], v[50:51]
	v_fma_f64 v[52:53], v[54:55], s[10:11], v[52:53]
	v_fma_f64 v[50:51], v[56:57], s[10:11], -v[50:51]
	v_add_f64 v[54:55], v[234:235], v[62:63]
	v_add_f64 v[56:57], v[238:239], v[60:61]
	;; [unrolled: 1-line block ×26, first 2 shown]
                                        ; implicit-def: $vgpr186_vgpr187
	v_add_f64 v[156:157], v[240:241], v[54:55]
	v_add_f64 v[158:159], v[246:247], v[56:57]
	;; [unrolled: 1-line block ×26, first 2 shown]
	v_mad_u32_u24 v0, 0xd0, v58, v59
	ds_store_b128 v0, v[108:111] offset:32
	ds_store_b128 v0, v[164:167] offset:48
	;; [unrolled: 1-line block ×11, first 2 shown]
	ds_store_b128 v0, v[64:67]
	ds_store_b128 v0, v[140:143] offset:16
	s_waitcnt lgkmcnt(0)
	s_barrier
	buffer_gl0_inv
                                        ; implicit-def: $vgpr182_vgpr183
                                        ; implicit-def: $vgpr190_vgpr191
	s_and_saveexec_b32 s10, vcc_lo
	s_cbranch_execz .LBB0_16
; %bb.15:
	ds_load_b128 v[64:67], v210
	ds_load_b128 v[140:143], v211 offset:208
	ds_load_b128 v[108:111], v211 offset:416
	;; [unrolled: 1-line block ×15, first 2 shown]
.LBB0_16:
	s_or_b32 exec_lo, exec_lo, s10
	v_add_nc_u32_e32 v0, -13, v58
	s_movk_i32 s10, 0xff0
	s_delay_alu instid0(VALU_DEP_1) | instskip(NEXT) | instid1(VALU_DEP_1)
	v_cndmask_b32_e32 v192, v0, v58, vcc_lo
	v_mul_lo_u32 v0, v92, v192
	s_delay_alu instid0(VALU_DEP_1)
	v_and_b32_e32 v5, 0xff, v0
	v_add_nc_u32_e32 v79, 0x8f, v192
	v_add_nc_u32_e32 v1, 13, v192
	;; [unrolled: 1-line block ×5, first 2 shown]
	v_mul_lo_u32 v93, v92, v79
	v_add_nc_u32_e32 v35, 0x4e, v192
	v_add_nc_u32_e32 v43, 0x5b, v192
	;; [unrolled: 1-line block ×7, first 2 shown]
	v_and_b32_e32 v95, 0xff, v93
	v_lshrrev_b32_e32 v93, 4, v93
	v_add_nc_u32_e32 v86, 0x9c, v192
	v_add_nc_u32_e32 v98, 0xc3, v192
	v_mul_lo_u32 v1, v92, v1
	v_mul_lo_u32 v3, v92, v3
	v_and_or_b32 v97, v93, s10, 0x1000
	v_add_nc_u32_e32 v93, 0xb6, v192
	v_mul_lo_u32 v25, v92, v4
	v_mul_lo_u32 v33, v92, v24
	;; [unrolled: 1-line block ×12, first 2 shown]
	v_and_b32_e32 v8, 0xff, v1
	v_and_b32_e32 v12, 0xff, v3
	;; [unrolled: 1-line block ×10, first 2 shown]
	v_lshrrev_b32_e32 v0, 4, v0
	v_lshrrev_b32_e32 v9, 4, v1
	;; [unrolled: 1-line block ×11, first 2 shown]
	v_and_b32_e32 v10, 0xff, v2
	v_and_b32_e32 v96, 0xff, v94
	;; [unrolled: 1-line block ×3, first 2 shown]
	v_lshrrev_b32_e32 v11, 4, v2
	v_lshrrev_b32_e32 v94, 4, v94
	;; [unrolled: 1-line block ×3, first 2 shown]
	v_and_b32_e32 v121, 0xff, v119
	v_lshrrev_b32_e32 v119, 4, v119
	v_lshlrev_b32_e32 v4, 4, v5
	v_lshlrev_b32_e32 v8, 4, v8
	;; [unrolled: 1-line block ×12, first 2 shown]
	v_and_or_b32 v5, v0, s10, 0x1000
	v_and_or_b32 v13, v9, s10, 0x1000
	;; [unrolled: 1-line block ×11, first 2 shown]
	v_lshlrev_b32_e32 v16, 4, v10
	v_lshlrev_b32_e32 v100, 4, v96
	;; [unrolled: 1-line block ×3, first 2 shown]
	v_and_or_b32 v20, v11, s10, 0x1000
	v_and_or_b32 v104, v94, s10, 0x1000
	;; [unrolled: 1-line block ×3, first 2 shown]
	v_lshlrev_b32_e32 v144, 4, v121
	v_and_or_b32 v148, v119, s10, 0x1000
	s_clause 0x1f
	global_load_b128 v[0:3], v4, s[8:9]
	global_load_b128 v[4:7], v5, s[8:9]
	;; [unrolled: 1-line block ×32, first 2 shown]
	s_waitcnt vmcnt(0) lgkmcnt(0)
	s_barrier
	buffer_gl0_inv
	s_and_saveexec_b32 s20, vcc_lo
	s_cbranch_execz .LBB0_18
; %bb.17:
	v_mul_i32_i24_e32 v192, 15, v192
	v_mov_b32_e32 v193, 0
	s_mov_b32 s8, 0x667f3bcd
	s_mov_b32 s9, 0x3fe6a09e
	;; [unrolled: 1-line block ×4, first 2 shown]
	v_lshlrev_b64 v[192:193], 4, v[192:193]
	s_mov_b32 s14, 0xcf328d46
	s_mov_b32 s15, 0x3fed906b
	;; [unrolled: 1-line block ×5, first 2 shown]
	v_add_co_u32 v192, vcc_lo, s16, v192
	v_add_co_ci_u32_e32 v193, vcc_lo, s17, v193, vcc_lo
	s_mov_b32 s17, 0xbfd87de2
	s_mov_b32 s16, s12
	s_clause 0xb
	global_load_b128 v[212:215], v[192:193], off offset:32
	global_load_b128 v[216:219], v[192:193], off offset:160
	global_load_b128 v[220:223], v[192:193], off offset:96
	global_load_b128 v[224:227], v[192:193], off offset:224
	global_load_b128 v[228:231], v[192:193], off
	global_load_b128 v[232:235], v[192:193], off offset:128
	global_load_b128 v[236:239], v[192:193], off offset:48
	;; [unrolled: 1-line block ×7, first 2 shown]
	s_mov_b32 s18, s14
	s_waitcnt vmcnt(11)
	v_mul_f64 v[198:199], v[166:167], v[214:215]
	v_mul_f64 v[200:201], v[164:165], v[214:215]
	s_waitcnt vmcnt(10)
	v_mul_f64 v[202:203], v[178:179], v[218:219]
	v_mul_f64 v[218:219], v[176:177], v[218:219]
	s_delay_alu instid0(VALU_DEP_4) | instskip(NEXT) | instid1(VALU_DEP_4)
	v_fma_f64 v[198:199], v[164:165], v[212:213], -v[198:199]
	v_fma_f64 v[200:201], v[166:167], v[212:213], v[200:201]
	s_clause 0x1
	global_load_b128 v[164:167], v[192:193], off offset:80
	global_load_b128 v[212:215], v[192:193], off offset:208
	v_fma_f64 v[202:203], v[176:177], v[216:217], -v[202:203]
	v_fma_f64 v[216:217], v[178:179], v[216:217], v[218:219]
	global_load_b128 v[176:179], v[192:193], off offset:112
	s_waitcnt vmcnt(12)
	v_mul_f64 v[192:193], v[172:173], v[222:223]
	v_mul_f64 v[218:219], v[174:175], v[222:223]
	s_waitcnt vmcnt(11)
	v_mul_f64 v[222:223], v[188:189], v[226:227]
	s_delay_alu instid0(VALU_DEP_3) | instskip(NEXT) | instid1(VALU_DEP_3)
	v_fma_f64 v[174:175], v[174:175], v[220:221], v[192:193]
	v_fma_f64 v[172:173], v[172:173], v[220:221], -v[218:219]
	v_mul_f64 v[192:193], v[190:191], v[226:227]
	s_waitcnt vmcnt(10)
	v_mul_f64 v[218:219], v[142:143], v[230:231]
	v_mul_f64 v[220:221], v[140:141], v[230:231]
	s_waitcnt vmcnt(9)
	v_mul_f64 v[226:227], v[170:171], v[234:235]
	v_fma_f64 v[190:191], v[190:191], v[224:225], v[222:223]
	s_waitcnt vmcnt(7)
	v_mul_f64 v[222:223], v[152:153], v[242:243]
	s_waitcnt vmcnt(5)
	v_mul_f64 v[230:231], v[110:111], v[250:251]
	v_fma_f64 v[188:189], v[188:189], v[224:225], -v[192:193]
	v_mul_f64 v[192:193], v[168:169], v[234:235]
	v_mul_f64 v[224:225], v[154:155], v[242:243]
	v_fma_f64 v[140:141], v[140:141], v[228:229], -v[218:219]
	v_mul_f64 v[218:219], v[108:109], v[250:251]
	v_fma_f64 v[142:143], v[142:143], v[228:229], v[220:221]
	s_waitcnt vmcnt(4)
	v_mul_f64 v[220:221], v[180:181], v[254:255]
	s_waitcnt vmcnt(3)
	v_mul_f64 v[228:229], v[162:163], v[196:197]
	v_mul_f64 v[196:197], v[160:161], v[196:197]
	v_fma_f64 v[168:169], v[168:169], v[232:233], -v[226:227]
	v_fma_f64 v[154:155], v[154:155], v[240:241], v[222:223]
	v_mul_f64 v[222:223], v[158:159], v[246:247]
	v_mul_f64 v[234:235], v[112:113], v[238:239]
	v_fma_f64 v[108:109], v[108:109], v[248:249], -v[230:231]
	v_mul_f64 v[230:231], v[182:183], v[254:255]
	v_mul_f64 v[242:243], v[24:25], v[30:31]
	;; [unrolled: 1-line block ×3, first 2 shown]
	v_fma_f64 v[170:171], v[170:171], v[232:233], v[192:193]
	v_mul_f64 v[232:233], v[114:115], v[238:239]
	v_fma_f64 v[152:153], v[152:153], v[240:241], -v[224:225]
	v_fma_f64 v[110:111], v[110:111], v[248:249], v[218:219]
	v_mul_f64 v[218:219], v[156:157], v[246:247]
	v_fma_f64 v[182:183], v[182:183], v[252:253], v[220:221]
	v_fma_f64 v[160:161], v[160:161], v[194:195], -v[228:229]
	v_fma_f64 v[162:163], v[162:163], v[194:195], v[196:197]
	v_add_f64 v[168:169], v[140:141], -v[168:169]
	v_mul_f64 v[220:221], v[94:95], v[98:99]
	v_fma_f64 v[156:157], v[156:157], v[244:245], -v[222:223]
	v_fma_f64 v[114:115], v[114:115], v[236:237], v[234:235]
	v_mul_f64 v[98:99], v[92:93], v[98:99]
	v_mul_f64 v[238:239], v[70:71], v[74:75]
	;; [unrolled: 1-line block ×5, first 2 shown]
	v_fma_f64 v[26:27], v[26:27], v[28:29], v[242:243]
	v_add_f64 v[170:171], v[142:143], -v[170:171]
	v_fma_f64 v[112:113], v[112:113], v[236:237], -v[232:233]
	v_mul_f64 v[236:237], v[78:79], v[82:83]
	v_mul_f64 v[82:83], v[76:77], v[82:83]
	v_fma_f64 v[158:159], v[158:159], v[244:245], v[218:219]
	v_add_f64 v[160:161], v[108:109], -v[160:161]
	v_add_f64 v[162:163], v[110:111], -v[162:163]
	v_fma_f64 v[140:141], v[140:141], 2.0, -v[168:169]
	v_fma_f64 v[92:93], v[92:93], v[96:97], -v[220:221]
	v_fma_f64 v[94:95], v[94:95], v[96:97], v[98:99]
	v_fma_f64 v[68:69], v[68:69], v[72:73], -v[238:239]
	v_fma_f64 v[70:71], v[70:71], v[72:73], v[74:75]
	v_fma_f64 v[58:59], v[58:59], v[60:61], v[240:241]
	v_fma_f64 v[56:57], v[56:57], v[60:61], -v[62:63]
	v_fma_f64 v[142:143], v[142:143], 2.0, -v[170:171]
	v_add_f64 v[156:157], v[112:113], -v[156:157]
	v_fma_f64 v[76:77], v[76:77], v[80:81], -v[236:237]
	v_fma_f64 v[78:79], v[78:79], v[80:81], v[82:83]
	v_add_f64 v[158:159], v[114:115], -v[158:159]
	v_fma_f64 v[108:109], v[108:109], 2.0, -v[160:161]
	v_fma_f64 v[110:111], v[110:111], 2.0, -v[162:163]
	;; [unrolled: 1-line block ×3, first 2 shown]
	s_delay_alu instid0(VALU_DEP_4)
	v_fma_f64 v[114:115], v[114:115], 2.0, -v[158:159]
	s_waitcnt vmcnt(2)
	v_mul_f64 v[192:193], v[134:135], v[166:167]
	v_mul_f64 v[166:167], v[132:133], v[166:167]
	s_waitcnt vmcnt(1)
	v_mul_f64 v[226:227], v[184:185], v[214:215]
	v_mul_f64 v[214:215], v[186:187], v[214:215]
	;; [unrolled: 3-line block ×3, first 2 shown]
	v_fma_f64 v[132:133], v[132:133], v[164:165], -v[192:193]
	v_fma_f64 v[134:135], v[134:135], v[164:165], v[166:167]
	v_fma_f64 v[164:165], v[186:187], v[212:213], v[226:227]
	v_fma_f64 v[166:167], v[184:185], v[212:213], -v[214:215]
	v_fma_f64 v[138:139], v[138:139], v[176:177], v[224:225]
	v_fma_f64 v[136:137], v[136:137], v[176:177], -v[178:179]
	v_fma_f64 v[176:177], v[180:181], v[252:253], -v[230:231]
	v_add_f64 v[178:179], v[154:155], -v[182:183]
	v_add_f64 v[180:181], v[198:199], -v[202:203]
	;; [unrolled: 1-line block ×5, first 2 shown]
	v_mul_f64 v[224:225], v[86:87], v[90:91]
	v_mul_f64 v[90:91], v[84:85], v[90:91]
	v_add_f64 v[164:165], v[134:135], -v[164:165]
	v_add_f64 v[166:167], v[132:133], -v[166:167]
	;; [unrolled: 1-line block ×6, first 2 shown]
	v_fma_f64 v[154:155], v[154:155], 2.0, -v[178:179]
	v_add_f64 v[194:195], v[180:181], -v[182:183]
	v_fma_f64 v[174:175], v[174:175], 2.0, -v[182:183]
	v_add_f64 v[188:189], v[184:185], v[186:187]
	v_fma_f64 v[182:183], v[198:199], 2.0, -v[180:181]
	v_fma_f64 v[172:173], v[172:173], 2.0, -v[186:187]
	v_fma_f64 v[86:87], v[86:87], v[88:89], v[90:91]
	v_fma_f64 v[84:85], v[84:85], v[88:89], -v[224:225]
	v_add_f64 v[196:197], v[160:161], -v[164:165]
	v_add_f64 v[212:213], v[162:163], v[166:167]
	v_add_f64 v[190:191], v[138:139], v[156:157]
	v_add_f64 v[202:203], v[136:137], -v[158:159]
	v_add_f64 v[214:215], v[170:171], v[176:177]
	v_fma_f64 v[152:153], v[152:153], 2.0, -v[176:177]
	v_fma_f64 v[176:177], v[200:201], 2.0, -v[184:185]
	;; [unrolled: 1-line block ×9, first 2 shown]
	v_fma_f64 v[168:169], v[194:195], s[8:9], v[192:193]
	v_add_f64 v[172:173], v[182:183], -v[172:173]
	v_add_f64 v[154:155], v[142:143], -v[154:155]
	v_fma_f64 v[160:161], v[160:161], 2.0, -v[196:197]
	v_fma_f64 v[162:163], v[162:163], 2.0, -v[212:213]
	;; [unrolled: 1-line block ×5, first 2 shown]
	v_fma_f64 v[170:171], v[188:189], s[8:9], v[214:215]
	v_add_f64 v[152:153], v[140:141], -v[152:153]
	v_add_f64 v[114:115], v[66:67], -v[114:115]
	;; [unrolled: 1-line block ×6, first 2 shown]
	v_fma_f64 v[178:179], v[212:213], s[8:9], v[190:191]
	v_fma_f64 v[180:181], v[196:197], s[8:9], v[202:203]
	;; [unrolled: 1-line block ×4, first 2 shown]
	v_fma_f64 v[182:183], v[182:183], 2.0, -v[172:173]
	v_add_f64 v[172:173], v[154:155], v[172:173]
	v_fma_f64 v[142:143], v[142:143], 2.0, -v[154:155]
	v_fma_f64 v[198:199], v[162:163], s[10:11], v[138:139]
	v_fma_f64 v[186:187], v[160:161], s[10:11], v[136:137]
	;; [unrolled: 1-line block ×4, first 2 shown]
	v_fma_f64 v[140:141], v[140:141], 2.0, -v[152:153]
	v_fma_f64 v[66:67], v[66:67], 2.0, -v[114:115]
	;; [unrolled: 1-line block ×3, first 2 shown]
	v_add_f64 v[188:189], v[152:153], -v[174:175]
	v_add_f64 v[134:135], v[112:113], -v[134:135]
	v_add_f64 v[194:195], v[114:115], v[132:133]
	v_fma_f64 v[178:179], v[196:197], s[8:9], v[178:179]
	v_fma_f64 v[180:181], v[212:213], s[10:11], v[180:181]
	v_fma_f64 v[64:65], v[64:65], 2.0, -v[112:113]
	v_fma_f64 v[108:109], v[108:109], 2.0, -v[132:133]
	;; [unrolled: 1-line block ×3, first 2 shown]
	v_fma_f64 v[156:157], v[156:157], s[10:11], v[184:185]
	v_fma_f64 v[154:155], v[154:155], 2.0, -v[172:173]
	v_fma_f64 v[184:185], v[192:193], 2.0, -v[168:169]
	v_mul_f64 v[196:197], v[118:119], v[122:123]
	v_mul_f64 v[122:123], v[116:117], v[122:123]
	;; [unrolled: 1-line block ×4, first 2 shown]
	v_fma_f64 v[160:161], v[160:161], s[8:9], v[198:199]
	v_fma_f64 v[162:163], v[162:163], s[10:11], v[186:187]
	;; [unrolled: 1-line block ×3, first 2 shown]
	v_fma_f64 v[176:177], v[214:215], 2.0, -v[170:171]
	v_add_f64 v[182:183], v[140:141], -v[182:183]
	v_mul_f64 v[214:215], v[102:103], v[106:107]
	v_add_f64 v[110:111], v[66:67], -v[110:111]
	v_fma_f64 v[152:153], v[152:153], 2.0, -v[188:189]
	v_fma_f64 v[112:113], v[112:113], 2.0, -v[134:135]
	;; [unrolled: 1-line block ×5, first 2 shown]
	v_mul_f64 v[190:191], v[146:147], v[150:151]
	v_add_f64 v[108:109], v[64:65], -v[108:109]
	v_add_f64 v[132:133], v[142:143], -v[132:133]
	v_fma_f64 v[158:159], v[158:159], 2.0, -v[156:157]
	v_mul_f64 v[150:151], v[144:145], v[150:151]
	v_fma_f64 v[202:203], v[172:173], s[8:9], v[194:195]
	v_fma_f64 v[212:213], v[188:189], s[8:9], v[134:135]
	;; [unrolled: 1-line block ×4, first 2 shown]
	v_mul_f64 v[106:107], v[100:101], v[106:107]
	v_fma_f64 v[118:119], v[118:119], v[120:121], v[122:123]
	v_fma_f64 v[126:127], v[126:127], v[128:129], v[130:131]
	v_fma_f64 v[116:117], v[116:117], v[120:121], -v[196:197]
	v_fma_f64 v[124:125], v[124:125], v[128:129], -v[192:193]
	v_fma_f64 v[138:139], v[138:139], 2.0, -v[160:161]
	v_fma_f64 v[136:137], v[136:137], 2.0, -v[162:163]
	;; [unrolled: 1-line block ×3, first 2 shown]
	v_fma_f64 v[216:217], v[164:165], s[12:13], v[160:161]
	v_fma_f64 v[218:219], v[156:157], s[12:13], v[162:163]
	v_fma_f64 v[140:141], v[140:141], 2.0, -v[182:183]
	v_fma_f64 v[66:67], v[66:67], 2.0, -v[110:111]
	v_add_f64 v[182:183], v[110:111], v[182:183]
	v_fma_f64 v[226:227], v[152:153], s[10:11], v[112:113]
	v_fma_f64 v[228:229], v[154:155], s[10:11], v[114:115]
	;; [unrolled: 1-line block ×4, first 2 shown]
	v_fma_f64 v[144:145], v[144:145], v[148:149], -v[190:191]
	v_fma_f64 v[64:65], v[64:65], 2.0, -v[108:109]
	v_fma_f64 v[142:143], v[142:143], 2.0, -v[132:133]
	v_mul_f64 v[190:191], v[32:33], v[38:39]
	v_fma_f64 v[146:147], v[146:147], v[148:149], v[150:151]
	v_mul_f64 v[148:149], v[48:49], v[54:55]
	v_fma_f64 v[188:189], v[188:189], s[8:9], v[202:203]
	v_fma_f64 v[172:173], v[172:173], s[10:11], v[212:213]
	;; [unrolled: 1-line block ×4, first 2 shown]
	v_mul_f64 v[198:199], v[16:17], v[22:23]
	v_add_f64 v[132:133], v[108:109], -v[132:133]
	v_mul_f64 v[150:151], v[40:41], v[46:47]
	v_mul_f64 v[202:203], v[0:1], v[6:7]
	v_mul_f64 v[200:201], v[8:9], v[14:15]
	v_mul_f64 v[54:55], v[50:51], v[54:55]
	v_mul_f64 v[46:47], v[42:43], v[46:47]
	v_mul_f64 v[38:39], v[34:35], v[38:39]
	v_mul_f64 v[22:23], v[18:19], v[22:23]
	v_mul_f64 v[14:15], v[10:11], v[14:15]
	v_fma_f64 v[102:103], v[102:103], v[104:105], v[106:107]
	v_fma_f64 v[100:101], v[100:101], v[104:105], -v[214:215]
	v_mul_f64 v[6:7], v[2:3], v[6:7]
	v_fma_f64 v[232:233], v[158:159], s[18:19], v[136:137]
	v_fma_f64 v[234:235], v[166:167], s[18:19], v[138:139]
	v_fma_f64 v[156:157], v[156:157], s[14:15], v[216:217]
	v_fma_f64 v[164:165], v[164:165], s[18:19], v[218:219]
	v_fma_f64 v[90:91], v[110:111], 2.0, -v[182:183]
	v_fma_f64 v[154:155], v[154:155], s[10:11], v[226:227]
	v_fma_f64 v[152:153], v[152:153], s[8:9], v[228:229]
	;; [unrolled: 1-line block ×4, first 2 shown]
	v_add_f64 v[140:141], v[64:65], -v[140:141]
	v_add_f64 v[142:143], v[66:67], -v[142:143]
	v_fma_f64 v[34:35], v[34:35], v[36:37], v[190:191]
	v_fma_f64 v[50:51], v[50:51], v[52:53], v[148:149]
	v_fma_f64 v[82:83], v[194:195], 2.0, -v[188:189]
	v_fma_f64 v[80:81], v[134:135], 2.0, -v[172:173]
	;; [unrolled: 1-line block ×4, first 2 shown]
	v_fma_f64 v[18:19], v[18:19], v[20:21], v[198:199]
	v_fma_f64 v[88:89], v[108:109], 2.0, -v[132:133]
	v_fma_f64 v[42:43], v[42:43], v[44:45], v[150:151]
	v_fma_f64 v[2:3], v[2:3], v[4:5], v[202:203]
	;; [unrolled: 1-line block ×3, first 2 shown]
	v_fma_f64 v[48:49], v[48:49], v[52:53], -v[54:55]
	v_fma_f64 v[52:53], v[40:41], v[44:45], -v[46:47]
	;; [unrolled: 1-line block ×6, first 2 shown]
	v_mul_f64 v[8:9], v[132:133], v[102:103]
	v_mul_f64 v[12:13], v[182:183], v[102:103]
	v_fma_f64 v[0:1], v[0:1], v[4:5], -v[6:7]
	v_mul_f64 v[4:5], v[170:171], v[146:147]
	v_mul_f64 v[6:7], v[172:173], v[126:127]
	v_mul_f64 v[126:127], v[188:189], v[126:127]
	v_fma_f64 v[166:167], v[166:167], s[16:17], v[232:233]
	v_fma_f64 v[158:159], v[158:159], s[12:13], v[234:235]
	v_fma_f64 v[110:111], v[160:161], 2.0, -v[156:157]
	v_fma_f64 v[108:109], v[162:163], 2.0, -v[164:165]
	v_mul_f64 v[16:17], v[156:157], v[118:119]
	v_mul_f64 v[14:15], v[164:165], v[118:119]
	v_fma_f64 v[98:99], v[112:113], 2.0, -v[154:155]
	v_fma_f64 v[104:105], v[114:115], 2.0, -v[152:153]
	;; [unrolled: 1-line block ×4, first 2 shown]
	v_mul_f64 v[22:23], v[184:185], v[94:95]
	v_fma_f64 v[64:65], v[64:65], 2.0, -v[140:141]
	v_fma_f64 v[66:67], v[66:67], 2.0, -v[142:143]
	v_mul_f64 v[24:25], v[154:155], v[86:87]
	v_mul_f64 v[32:33], v[142:143], v[70:71]
	;; [unrolled: 1-line block ×11, first 2 shown]
	v_fma_f64 v[6:7], v[188:189], v[124:125], v[6:7]
	v_fma_f64 v[112:113], v[136:137], 2.0, -v[166:167]
	v_fma_f64 v[114:115], v[138:139], 2.0, -v[158:159]
	v_mul_f64 v[122:123], v[110:111], v[42:43]
	v_mul_f64 v[120:121], v[108:109], v[42:43]
	;; [unrolled: 1-line block ×9, first 2 shown]
	v_fma_f64 v[14:15], v[156:157], v[116:117], v[14:15]
	v_mul_f64 v[128:129], v[2:3], v[64:65]
	v_mul_f64 v[130:131], v[2:3], v[66:67]
	v_fma_f64 v[2:3], v[168:169], v[144:145], v[4:5]
	v_fma_f64 v[4:5], v[172:173], v[124:125], -v[126:127]
	v_fma_f64 v[18:19], v[184:185], v[92:93], v[20:21]
	v_fma_f64 v[20:21], v[154:155], v[84:85], -v[28:29]
	v_fma_f64 v[34:35], v[82:83], v[48:49], v[46:47]
	v_fma_f64 v[26:27], v[142:143], v[68:69], v[30:31]
	;; [unrolled: 1-line block ×3, first 2 shown]
	v_fma_f64 v[28:29], v[72:73], v[56:57], -v[40:41]
	v_fma_f64 v[38:39], v[90:91], v[36:37], v[58:59]
	v_fma_f64 v[36:37], v[88:89], v[36:37], -v[62:63]
	v_mul_f64 v[134:135], v[10:11], v[112:113]
	v_mul_f64 v[136:137], v[10:11], v[114:115]
	v_fma_f64 v[10:11], v[182:183], v[100:101], v[8:9]
	v_fma_f64 v[8:9], v[132:133], v[100:101], -v[12:13]
	v_fma_f64 v[12:13], v[164:165], v[116:117], -v[16:17]
	v_fma_f64 v[16:17], v[176:177], v[92:93], -v[22:23]
	v_fma_f64 v[22:23], v[152:153], v[84:85], v[24:25]
	v_fma_f64 v[24:25], v[140:141], v[68:69], -v[32:33]
	v_fma_f64 v[32:33], v[80:81], v[48:49], -v[50:51]
	v_fma_f64 v[50:51], v[104:105], v[54:55], v[94:95]
	v_fma_f64 v[48:49], v[98:99], v[54:55], -v[102:103]
	v_fma_f64 v[46:47], v[106:107], v[44:45], v[86:87]
	;; [unrolled: 2-line block ×5, first 2 shown]
	v_fma_f64 v[56:57], v[0:1], v[64:65], -v[130:131]
	v_fma_f64 v[0:1], v[170:171], v[144:145], -v[138:139]
	v_fma_f64 v[62:63], v[60:61], v[114:115], v[134:135]
	v_fma_f64 v[60:61], v[60:61], v[112:113], -v[136:137]
	ds_store_b128 v211, v[32:35] offset:1248
	ds_store_b128 v211, v[28:31] offset:1456
	;; [unrolled: 1-line block ×12, first 2 shown]
	ds_store_b128 v210, v[56:59]
	ds_store_b128 v211, v[60:63] offset:208
	ds_store_b128 v211, v[4:7] offset:2912
	;; [unrolled: 1-line block ×3, first 2 shown]
.LBB0_18:
	s_or_b32 exec_lo, exec_lo, s20
	s_waitcnt lgkmcnt(0)
	s_barrier
	buffer_gl0_inv
	s_and_saveexec_b32 s8, s33
	s_cbranch_execz .LBB0_20
; %bb.19:
	v_mad_u64_u32 v[0:1], null, s6, v208, 0
	v_mad_u64_u32 v[2:3], null, s4, v205, 0
	;; [unrolled: 1-line block ×3, first 2 shown]
	s_lshl_b64 s[2:3], s[2:3], 4
	v_mad_u64_u32 v[10:11], null, s4, v206, 0
	s_add_u32 s0, s0, s2
	s_delay_alu instid0(VALU_DEP_3) | instskip(NEXT) | instid1(VALU_DEP_3)
	v_mad_u64_u32 v[4:5], null, s7, v208, v[1:2]
	v_mov_b32_e32 v1, v9
	s_addc_u32 s1, s1, s3
	v_mad_u64_u32 v[14:15], null, s4, v209, 0
	s_delay_alu instid0(VALU_DEP_3)
	v_mad_u64_u32 v[5:6], null, s5, v205, v[3:4]
	s_clause 0x1
	scratch_load_b32 v3, off, off offset:36
	scratch_load_b32 v6, off, off offset:40
	s_waitcnt vmcnt(0)
	v_add3_u32 v25, 0, v6, v3
	v_mad_u64_u32 v[6:7], null, s5, v207, v[1:2]
	v_mov_b32_e32 v1, v4
	v_mov_b32_e32 v3, v5
	s_delay_alu instid0(VALU_DEP_2) | instskip(NEXT) | instid1(VALU_DEP_2)
	v_lshlrev_b64 v[0:1], 4, v[0:1]
	v_lshlrev_b64 v[12:13], 4, v[2:3]
	v_mov_b32_e32 v9, v6
	s_delay_alu instid0(VALU_DEP_3) | instskip(NEXT) | instid1(VALU_DEP_4)
	v_add_co_u32 v26, vcc_lo, s0, v0
	v_add_co_ci_u32_e32 v27, vcc_lo, s1, v1, vcc_lo
	ds_load_b128 v[0:3], v25
	ds_load_b128 v[4:7], v25 offset:256
	v_add_co_u32 v12, vcc_lo, v26, v12
	v_lshlrev_b64 v[8:9], 4, v[8:9]
	v_add_co_ci_u32_e32 v13, vcc_lo, v27, v13, vcc_lo
	s_delay_alu instid0(VALU_DEP_3)
	v_mad_u64_u32 v[16:17], null, s5, v206, v[11:12]
	v_mov_b32_e32 v11, v15
	scratch_load_b32 v20, off, off offset:32 ; 4-byte Folded Reload
	v_add_co_u32 v8, vcc_lo, v26, v8
	v_add_co_ci_u32_e32 v9, vcc_lo, v27, v9, vcc_lo
	v_mad_u64_u32 v[17:18], null, s5, v209, v[11:12]
	v_mov_b32_e32 v11, v16
	s_waitcnt lgkmcnt(1)
	global_store_b128 v[12:13], v[0:3], off
	s_waitcnt lgkmcnt(0)
	global_store_b128 v[8:9], v[4:7], off
	v_lshlrev_b64 v[8:9], 4, v[10:11]
	ds_load_b128 v[0:3], v25 offset:512
	ds_load_b128 v[4:7], v25 offset:768
	s_clause 0x1
	scratch_load_b32 v11, off, off offset:28
	scratch_load_b32 v23, off, off offset:24
	v_mov_b32_e32 v15, v17
	s_delay_alu instid0(VALU_DEP_1) | instskip(SKIP_2) | instid1(VALU_DEP_1)
	v_lshlrev_b64 v[14:15], 4, v[14:15]
	s_waitcnt vmcnt(2)
	v_mad_u64_u32 v[18:19], null, s4, v20, 0
	v_mov_b32_e32 v10, v19
	s_waitcnt vmcnt(1)
	v_mad_u64_u32 v[12:13], null, s4, v11, 0
	s_delay_alu instid0(VALU_DEP_2) | instskip(SKIP_2) | instid1(VALU_DEP_4)
	v_mad_u64_u32 v[16:17], null, s5, v20, v[10:11]
	v_add_co_u32 v20, vcc_lo, v26, v8
	v_add_co_ci_u32_e32 v21, vcc_lo, v27, v9, vcc_lo
	v_mov_b32_e32 v8, v13
	v_add_co_u32 v13, vcc_lo, v26, v14
	v_add_co_ci_u32_e32 v14, vcc_lo, v27, v15, vcc_lo
	v_mov_b32_e32 v19, v16
	s_delay_alu instid0(VALU_DEP_4)
	v_mad_u64_u32 v[15:16], null, s5, v11, v[8:9]
	ds_load_b128 v[8:11], v25 offset:1024
	s_waitcnt lgkmcnt(2)
	global_store_b128 v[20:21], v[0:3], off
	s_waitcnt lgkmcnt(1)
	global_store_b128 v[13:14], v[4:7], off
	v_lshlrev_b64 v[4:5], 4, v[18:19]
	scratch_load_b32 v19, off, off offset:20 ; 4-byte Folded Reload
	s_waitcnt vmcnt(1)
	v_mad_u64_u32 v[16:17], null, s4, v23, 0
	v_mov_b32_e32 v13, v15
	ds_load_b128 v[0:3], v25 offset:1280
	v_add_co_u32 v4, vcc_lo, v26, v4
	v_add_co_ci_u32_e32 v5, vcc_lo, v27, v5, vcc_lo
	v_mov_b32_e32 v6, v17
	v_lshlrev_b64 v[12:13], 4, v[12:13]
	s_delay_alu instid0(VALU_DEP_2)
	v_mad_u64_u32 v[17:18], null, s5, v23, v[6:7]
	s_waitcnt lgkmcnt(1)
	global_store_b128 v[4:5], v[8:11], off
	scratch_load_b32 v11, off, off offset:16 ; 4-byte Folded Reload
	v_add_co_u32 v5, vcc_lo, v26, v12
	v_add_co_ci_u32_e32 v6, vcc_lo, v27, v13, vcc_lo
	s_waitcnt vmcnt(1)
	v_mad_u64_u32 v[14:15], null, s4, v19, 0
	s_delay_alu instid0(VALU_DEP_1) | instskip(NEXT) | instid1(VALU_DEP_1)
	v_mov_b32_e32 v4, v15
	v_mad_u64_u32 v[7:8], null, s5, v19, v[4:5]
	v_lshlrev_b64 v[8:9], 4, v[16:17]
	s_waitcnt vmcnt(0)
	v_mad_u64_u32 v[12:13], null, s4, v11, 0
	s_delay_alu instid0(VALU_DEP_2) | instskip(NEXT) | instid1(VALU_DEP_3)
	v_add_co_u32 v16, vcc_lo, v26, v8
	v_add_co_ci_u32_e32 v17, vcc_lo, v27, v9, vcc_lo
	s_delay_alu instid0(VALU_DEP_3) | instskip(NEXT) | instid1(VALU_DEP_1)
	v_dual_mov_b32 v15, v7 :: v_dual_mov_b32 v10, v13
	v_lshlrev_b64 v[13:14], 4, v[14:15]
	s_delay_alu instid0(VALU_DEP_2)
	v_mad_u64_u32 v[18:19], null, s5, v11, v[10:11]
	ds_load_b128 v[8:11], v25 offset:2048
	s_waitcnt lgkmcnt(1)
	global_store_b128 v[5:6], v[0:3], off
	ds_load_b128 v[0:3], v25 offset:1536
	ds_load_b128 v[4:7], v25 offset:1792
	scratch_load_b32 v15, off, off offset:12 ; 4-byte Folded Reload
	v_add_co_u32 v21, vcc_lo, v26, v13
	v_mov_b32_e32 v13, v18
	v_add_co_ci_u32_e32 v22, vcc_lo, v27, v14, vcc_lo
	scratch_load_b32 v18, off, off offset:4 ; 4-byte Folded Reload
	s_waitcnt lgkmcnt(1)
	global_store_b128 v[16:17], v[0:3], off
	v_lshlrev_b64 v[1:2], 4, v[12:13]
	s_waitcnt lgkmcnt(0)
	global_store_b128 v[21:22], v[4:7], off
	scratch_load_b32 v21, off, off offset:8 ; 4-byte Folded Reload
	v_add_co_u32 v12, vcc_lo, v26, v1
	v_add_co_ci_u32_e32 v13, vcc_lo, v27, v2, vcc_lo
	global_store_b128 v[12:13], v[8:11], off
	scratch_load_b32 v12, off, off          ; 4-byte Folded Reload
	s_waitcnt vmcnt(3)
	v_mad_u64_u32 v[19:20], null, s4, v15, 0
	s_delay_alu instid0(VALU_DEP_1) | instskip(NEXT) | instid1(VALU_DEP_1)
	v_mov_b32_e32 v0, v20
	v_mad_u64_u32 v[4:5], null, s5, v15, v[0:1]
	s_waitcnt vmcnt(2)
	v_mad_u64_u32 v[5:6], null, s4, v18, 0
	ds_load_b128 v[0:3], v25 offset:2304
	s_waitcnt vmcnt(1)
	v_mad_u64_u32 v[14:15], null, s4, v21, 0
	v_mov_b32_e32 v20, v4
	v_mov_b32_e32 v4, v6
	s_delay_alu instid0(VALU_DEP_2) | instskip(NEXT) | instid1(VALU_DEP_4)
	v_lshlrev_b64 v[7:8], 4, v[19:20]
	v_mov_b32_e32 v6, v15
	s_delay_alu instid0(VALU_DEP_3) | instskip(SKIP_2) | instid1(VALU_DEP_3)
	v_mad_u64_u32 v[9:10], null, s5, v18, v[4:5]
	s_waitcnt vmcnt(0)
	v_mad_u64_u32 v[16:17], null, s4, v12, 0
	v_mad_u64_u32 v[10:11], null, s5, v21, v[6:7]
	v_add_co_u32 v18, vcc_lo, v26, v7
	s_delay_alu instid0(VALU_DEP_4) | instskip(SKIP_1) | instid1(VALU_DEP_4)
	v_mov_b32_e32 v6, v9
	v_add_co_ci_u32_e32 v19, vcc_lo, v27, v8, vcc_lo
	v_dual_mov_b32 v4, v17 :: v_dual_mov_b32 v15, v10
	s_delay_alu instid0(VALU_DEP_1) | instskip(NEXT) | instid1(VALU_DEP_4)
	v_mad_u64_u32 v[20:21], null, s5, v12, v[4:5]
	v_lshlrev_b64 v[21:22], 4, v[5:6]
	ds_load_b128 v[4:7], v25 offset:2560
	ds_load_b128 v[8:11], v25 offset:2816
	v_lshlrev_b64 v[23:24], 4, v[14:15]
	ds_load_b128 v[12:15], v25 offset:3072
	v_mov_b32_e32 v17, v20
	v_add_co_u32 v20, vcc_lo, v26, v21
	v_add_co_ci_u32_e32 v21, vcc_lo, v27, v22, vcc_lo
	s_delay_alu instid0(VALU_DEP_3) | instskip(SKIP_2) | instid1(VALU_DEP_3)
	v_lshlrev_b64 v[16:17], 4, v[16:17]
	v_add_co_u32 v22, vcc_lo, v26, v23
	v_add_co_ci_u32_e32 v23, vcc_lo, v27, v24, vcc_lo
	v_add_co_u32 v16, vcc_lo, v26, v16
	s_delay_alu instid0(VALU_DEP_4)
	v_add_co_ci_u32_e32 v17, vcc_lo, v27, v17, vcc_lo
	s_waitcnt lgkmcnt(3)
	global_store_b128 v[18:19], v[0:3], off
	s_waitcnt lgkmcnt(2)
	global_store_b128 v[20:21], v[4:7], off
	;; [unrolled: 2-line block ×4, first 2 shown]
.LBB0_20:
	s_nop 0
	s_sendmsg sendmsg(MSG_DEALLOC_VGPRS)
	s_endpgm
	.section	.rodata,"a",@progbits
	.p2align	6, 0x0
	.amdhsa_kernel fft_rtc_fwd_len208_factors_13_16_wgs_144_tpt_16_dp_ip_CI_sbcc_twdbase8_2step
		.amdhsa_group_segment_fixed_size 0
		.amdhsa_private_segment_fixed_size 48
		.amdhsa_kernarg_size 96
		.amdhsa_user_sgpr_count 15
		.amdhsa_user_sgpr_dispatch_ptr 0
		.amdhsa_user_sgpr_queue_ptr 0
		.amdhsa_user_sgpr_kernarg_segment_ptr 1
		.amdhsa_user_sgpr_dispatch_id 0
		.amdhsa_user_sgpr_private_segment_size 0
		.amdhsa_wavefront_size32 1
		.amdhsa_uses_dynamic_stack 0
		.amdhsa_enable_private_segment 1
		.amdhsa_system_sgpr_workgroup_id_x 1
		.amdhsa_system_sgpr_workgroup_id_y 0
		.amdhsa_system_sgpr_workgroup_id_z 0
		.amdhsa_system_sgpr_workgroup_info 0
		.amdhsa_system_vgpr_workitem_id 0
		.amdhsa_next_free_vgpr 256
		.amdhsa_next_free_sgpr 48
		.amdhsa_reserve_vcc 1
		.amdhsa_float_round_mode_32 0
		.amdhsa_float_round_mode_16_64 0
		.amdhsa_float_denorm_mode_32 3
		.amdhsa_float_denorm_mode_16_64 3
		.amdhsa_dx10_clamp 1
		.amdhsa_ieee_mode 1
		.amdhsa_fp16_overflow 0
		.amdhsa_workgroup_processor_mode 1
		.amdhsa_memory_ordered 1
		.amdhsa_forward_progress 0
		.amdhsa_shared_vgpr_count 0
		.amdhsa_exception_fp_ieee_invalid_op 0
		.amdhsa_exception_fp_denorm_src 0
		.amdhsa_exception_fp_ieee_div_zero 0
		.amdhsa_exception_fp_ieee_overflow 0
		.amdhsa_exception_fp_ieee_underflow 0
		.amdhsa_exception_fp_ieee_inexact 0
		.amdhsa_exception_int_div_zero 0
	.end_amdhsa_kernel
	.text
.Lfunc_end0:
	.size	fft_rtc_fwd_len208_factors_13_16_wgs_144_tpt_16_dp_ip_CI_sbcc_twdbase8_2step, .Lfunc_end0-fft_rtc_fwd_len208_factors_13_16_wgs_144_tpt_16_dp_ip_CI_sbcc_twdbase8_2step
                                        ; -- End function
	.section	.AMDGPU.csdata,"",@progbits
; Kernel info:
; codeLenInByte = 12588
; NumSgprs: 50
; NumVgprs: 256
; ScratchSize: 48
; MemoryBound: 0
; FloatMode: 240
; IeeeMode: 1
; LDSByteSize: 0 bytes/workgroup (compile time only)
; SGPRBlocks: 6
; VGPRBlocks: 31
; NumSGPRsForWavesPerEU: 50
; NumVGPRsForWavesPerEU: 256
; Occupancy: 5
; WaveLimiterHint : 1
; COMPUTE_PGM_RSRC2:SCRATCH_EN: 1
; COMPUTE_PGM_RSRC2:USER_SGPR: 15
; COMPUTE_PGM_RSRC2:TRAP_HANDLER: 0
; COMPUTE_PGM_RSRC2:TGID_X_EN: 1
; COMPUTE_PGM_RSRC2:TGID_Y_EN: 0
; COMPUTE_PGM_RSRC2:TGID_Z_EN: 0
; COMPUTE_PGM_RSRC2:TIDIG_COMP_CNT: 0
	.text
	.p2alignl 7, 3214868480
	.fill 96, 4, 3214868480
	.type	__hip_cuid_7321d5f16bd2a60b,@object ; @__hip_cuid_7321d5f16bd2a60b
	.section	.bss,"aw",@nobits
	.globl	__hip_cuid_7321d5f16bd2a60b
__hip_cuid_7321d5f16bd2a60b:
	.byte	0                               ; 0x0
	.size	__hip_cuid_7321d5f16bd2a60b, 1

	.ident	"AMD clang version 19.0.0git (https://github.com/RadeonOpenCompute/llvm-project roc-6.4.0 25133 c7fe45cf4b819c5991fe208aaa96edf142730f1d)"
	.section	".note.GNU-stack","",@progbits
	.addrsig
	.addrsig_sym __hip_cuid_7321d5f16bd2a60b
	.amdgpu_metadata
---
amdhsa.kernels:
  - .args:
      - .actual_access:  read_only
        .address_space:  global
        .offset:         0
        .size:           8
        .value_kind:     global_buffer
      - .address_space:  global
        .offset:         8
        .size:           8
        .value_kind:     global_buffer
      - .offset:         16
        .size:           8
        .value_kind:     by_value
      - .actual_access:  read_only
        .address_space:  global
        .offset:         24
        .size:           8
        .value_kind:     global_buffer
      - .actual_access:  read_only
        .address_space:  global
        .offset:         32
        .size:           8
        .value_kind:     global_buffer
      - .offset:         40
        .size:           8
        .value_kind:     by_value
      - .actual_access:  read_only
        .address_space:  global
        .offset:         48
        .size:           8
        .value_kind:     global_buffer
      - .actual_access:  read_only
        .address_space:  global
        .offset:         56
        .size:           8
        .value_kind:     global_buffer
      - .offset:         64
        .size:           4
        .value_kind:     by_value
      - .actual_access:  read_only
        .address_space:  global
        .offset:         72
        .size:           8
        .value_kind:     global_buffer
      - .actual_access:  read_only
        .address_space:  global
        .offset:         80
        .size:           8
        .value_kind:     global_buffer
      - .address_space:  global
        .offset:         88
        .size:           8
        .value_kind:     global_buffer
    .group_segment_fixed_size: 0
    .kernarg_segment_align: 8
    .kernarg_segment_size: 96
    .language:       OpenCL C
    .language_version:
      - 2
      - 0
    .max_flat_workgroup_size: 144
    .name:           fft_rtc_fwd_len208_factors_13_16_wgs_144_tpt_16_dp_ip_CI_sbcc_twdbase8_2step
    .private_segment_fixed_size: 48
    .sgpr_count:     50
    .sgpr_spill_count: 0
    .symbol:         fft_rtc_fwd_len208_factors_13_16_wgs_144_tpt_16_dp_ip_CI_sbcc_twdbase8_2step.kd
    .uniform_work_group_size: 1
    .uses_dynamic_stack: false
    .vgpr_count:     256
    .vgpr_spill_count: 11
    .wavefront_size: 32
    .workgroup_processor_mode: 1
amdhsa.target:   amdgcn-amd-amdhsa--gfx1100
amdhsa.version:
  - 1
  - 2
...

	.end_amdgpu_metadata
